;; amdgpu-corpus repo=ROCm/rocFFT kind=compiled arch=gfx1201 opt=O3
	.text
	.amdgcn_target "amdgcn-amd-amdhsa--gfx1201"
	.amdhsa_code_object_version 6
	.protected	bluestein_single_fwd_len2250_dim1_dp_op_CI_CI ; -- Begin function bluestein_single_fwd_len2250_dim1_dp_op_CI_CI
	.globl	bluestein_single_fwd_len2250_dim1_dp_op_CI_CI
	.p2align	8
	.type	bluestein_single_fwd_len2250_dim1_dp_op_CI_CI,@function
bluestein_single_fwd_len2250_dim1_dp_op_CI_CI: ; @bluestein_single_fwd_len2250_dim1_dp_op_CI_CI
; %bb.0:
	s_load_b128 s[8:11], s[0:1], 0x28
	v_mul_u32_u24_e32 v1, 0x2d9, v0
	s_mov_b32 s2, exec_lo
	v_mov_b32_e32 v6, 0
	s_delay_alu instid0(VALU_DEP_2) | instskip(NEXT) | instid1(VALU_DEP_1)
	v_lshrrev_b32_e32 v1, 16, v1
	v_add_nc_u32_e32 v5, ttmp9, v1
	s_wait_kmcnt 0x0
	s_delay_alu instid0(VALU_DEP_1)
	v_cmpx_gt_u64_e64 s[8:9], v[5:6]
	s_cbranch_execz .LBB0_31
; %bb.1:
	s_load_b128 s[4:7], s[0:1], 0x18
	v_mul_lo_u16 v1, 0x5a, v1
	s_movk_i32 s2, 0xf871
	s_mov_b32 s3, -1
	v_mov_b32_e32 v7, v5
	s_wait_kmcnt 0x0
	s_load_b128 s[12:15], s[4:5], 0x0
	s_load_b64 s[16:17], s[0:1], 0x0
	v_sub_nc_u16 v2, v0, v1
	s_delay_alu instid0(VALU_DEP_1) | instskip(NEXT) | instid1(VALU_DEP_1)
	v_and_b32_e32 v6, 0xffff, v2
	v_lshlrev_b32_e32 v176, 4, v6
	s_wait_kmcnt 0x0
	s_clause 0x3
	global_load_b128 v[177:180], v176, s[16:17] offset:28800
	global_load_b128 v[163:166], v176, s[16:17] offset:32400
	global_load_b128 v[115:118], v176, s[16:17]
	global_load_b128 v[159:162], v176, s[16:17] offset:1440
	v_mad_co_u64_u32 v[3:4], null, s14, v5, 0
	v_mad_co_u64_u32 v[0:1], null, s12, v6, 0
	scratch_store_b64 off, v[7:8], off offset:12 ; 8-byte Folded Spill
	s_clause 0x3
	global_load_b128 v[189:192], v176, s[16:17] offset:3600
	global_load_b128 v[167:170], v176, s[16:17] offset:5040
	;; [unrolled: 1-line block ×4, first 2 shown]
	scratch_store_b32 off, v6, off          ; 4-byte Folded Spill
	s_mul_u64 s[4:5], s[12:13], 0xe1
	v_mad_co_u64_u32 v[4:5], null, s15, v5, v[4:5]
	v_mad_co_u64_u32 v[5:6], null, s13, v6, v[1:2]
	s_mul_u64 s[2:3], s[12:13], s[2:3]
	s_delay_alu instid0(SALU_CYCLE_1) | instskip(NEXT) | instid1(VALU_DEP_2)
	s_lshl_b64 s[2:3], s[2:3], 4
	v_lshlrev_b64_e32 v[3:4], 4, v[3:4]
	s_delay_alu instid0(VALU_DEP_2)
	v_mov_b32_e32 v1, v5
	s_clause 0x9
	global_load_b128 v[209:212], v176, s[16:17] offset:10800
	global_load_b128 v[181:184], v176, s[16:17] offset:12240
	global_load_b128 v[205:208], v176, s[16:17] offset:14400
	global_load_b128 v[185:188], v176, s[16:17] offset:15840
	global_load_b128 v[217:220], v176, s[16:17] offset:18000
	global_load_b128 v[193:196], v176, s[16:17] offset:19440
	global_load_b128 v[221:224], v176, s[16:17] offset:21600
	global_load_b128 v[201:204], v176, s[16:17] offset:23040
	global_load_b128 v[225:228], v176, s[16:17] offset:25200
	global_load_b128 v[213:216], v176, s[16:17] offset:26640
	v_add_co_u32 v3, vcc_lo, s10, v3
	v_lshlrev_b64_e32 v[0:1], 4, v[0:1]
	v_add_co_ci_u32_e32 v4, vcc_lo, s11, v4, vcc_lo
	s_lshl_b64 s[10:11], s[4:5], 4
	s_delay_alu instid0(VALU_DEP_2) | instskip(SKIP_1) | instid1(VALU_DEP_2)
	v_add_co_u32 v0, vcc_lo, v3, v0
	s_wait_alu 0xfffd
	v_add_co_ci_u32_e32 v1, vcc_lo, v4, v1, vcc_lo
	s_wait_alu 0xfffe
	s_delay_alu instid0(VALU_DEP_2) | instskip(SKIP_1) | instid1(VALU_DEP_2)
	v_add_co_u32 v7, vcc_lo, v0, s10
	s_wait_alu 0xfffd
	v_add_co_ci_u32_e32 v8, vcc_lo, s11, v1, vcc_lo
	s_delay_alu instid0(VALU_DEP_2) | instskip(SKIP_1) | instid1(VALU_DEP_2)
	v_add_co_u32 v11, vcc_lo, v7, s10
	s_wait_alu 0xfffd
	v_add_co_ci_u32_e32 v12, vcc_lo, s11, v8, vcc_lo
	s_clause 0x1
	global_load_b128 v[3:6], v[0:1], off
	global_load_b128 v[7:10], v[7:8], off
	v_add_co_u32 v15, vcc_lo, v11, s10
	s_wait_alu 0xfffd
	v_add_co_ci_u32_e32 v16, vcc_lo, s11, v12, vcc_lo
	s_delay_alu instid0(VALU_DEP_2) | instskip(SKIP_1) | instid1(VALU_DEP_2)
	v_add_co_u32 v0, vcc_lo, v15, s10
	s_wait_alu 0xfffd
	v_add_co_ci_u32_e32 v1, vcc_lo, s11, v16, vcc_lo
	s_clause 0x1
	global_load_b128 v[11:14], v[11:12], off
	global_load_b128 v[15:18], v[15:16], off
	v_add_co_u32 v23, vcc_lo, v0, s10
	s_wait_alu 0xfffd
	v_add_co_ci_u32_e32 v24, vcc_lo, s11, v1, vcc_lo
	global_load_b128 v[19:22], v[0:1], off
	v_add_co_u32 v0, vcc_lo, v23, s10
	s_wait_alu 0xfffd
	v_add_co_ci_u32_e32 v1, vcc_lo, s11, v24, vcc_lo
	;; [unrolled: 4-line block ×15, first 2 shown]
	global_load_b128 v[229:232], v176, s[16:17] offset:30240
	global_load_b128 v[75:78], v[75:76], off
	global_load_b128 v[233:236], v176, s[16:17] offset:33840
	global_load_b128 v[79:82], v[0:1], off
	v_cmp_gt_u16_e32 vcc_lo, 45, v2
	s_wait_loadcnt 0x27
	scratch_store_b128 off, v[177:180], off offset:84 ; 16-byte Folded Spill
	s_wait_loadcnt 0x26
	scratch_store_b128 off, v[163:166], off offset:36 ; 16-byte Folded Spill
	;; [unrolled: 2-line block ×11, first 2 shown]
	s_wait_loadcnt 0x19
	s_clause 0x1
	scratch_store_b128 off, v[221:224], off offset:276
	scratch_store_b128 off, v[217:220], off offset:260
	s_wait_loadcnt 0x17
	scratch_store_b128 off, v[225:228], off offset:292 ; 16-byte Folded Spill
	s_wait_loadcnt 0x16
	s_clause 0x3
	scratch_store_b128 off, v[213:216], off offset:244
	scratch_store_b128 off, v[185:188], off offset:116
	;; [unrolled: 1-line block ×4, first 2 shown]
	s_wait_loadcnt 0x15
	v_mul_f64_e32 v[83:84], v[5:6], v[117:118]
	v_mul_f64_e32 v[85:86], v[3:4], v[117:118]
	s_wait_loadcnt 0x14
	v_mul_f64_e32 v[87:88], v[9:10], v[191:192]
	v_mul_f64_e32 v[89:90], v[7:8], v[191:192]
	;; [unrolled: 3-line block ×8, first 2 shown]
	v_fma_f64 v[3:4], v[3:4], v[115:116], v[83:84]
	v_fma_f64 v[5:6], v[5:6], v[115:116], -v[85:86]
	s_wait_loadcnt 0xd
	v_mul_f64_e32 v[83:84], v[37:38], v[179:180]
	s_wait_loadcnt 0xc
	v_mul_f64_e32 v[115:116], v[41:42], v[165:166]
	v_mul_f64_e32 v[149:150], v[39:40], v[165:166]
	;; [unrolled: 1-line block ×3, first 2 shown]
	v_fma_f64 v[7:8], v[7:8], v[189:190], v[87:88]
	v_fma_f64 v[9:10], v[9:10], v[189:190], -v[89:90]
	s_wait_loadcnt 0xb
	v_mul_f64_e32 v[117:118], v[45:46], v[161:162]
	v_mul_f64_e32 v[119:120], v[43:44], v[161:162]
	v_fma_f64 v[11:12], v[11:12], v[197:198], v[91:92]
	v_fma_f64 v[13:14], v[13:14], v[197:198], -v[93:94]
	v_fma_f64 v[15:16], v[15:16], v[209:210], v[95:96]
	s_wait_loadcnt 0xa
	v_mul_f64_e32 v[121:122], v[49:50], v[169:170]
	v_mul_f64_e32 v[123:124], v[47:48], v[169:170]
	v_fma_f64 v[17:18], v[17:18], v[209:210], -v[97:98]
	v_fma_f64 v[19:20], v[19:20], v[205:206], v[99:100]
	v_fma_f64 v[21:22], v[21:22], v[205:206], -v[101:102]
	s_wait_loadcnt 0x9
	v_mul_f64_e32 v[125:126], v[53:54], v[173:174]
	v_mul_f64_e32 v[127:128], v[51:52], v[173:174]
	v_fma_f64 v[23:24], v[23:24], v[217:218], v[103:104]
	v_fma_f64 v[25:26], v[25:26], v[217:218], -v[105:106]
	s_wait_loadcnt 0x8
	v_mul_f64_e32 v[129:130], v[57:58], v[183:184]
	v_mul_f64_e32 v[131:132], v[55:56], v[183:184]
	;; [unrolled: 5-line block ×4, first 2 shown]
	s_wait_loadcnt 0x5
	v_mul_f64_e32 v[141:142], v[69:70], v[203:204]
	v_mul_f64_e32 v[143:144], v[67:68], v[203:204]
	v_fma_f64 v[35:36], v[35:36], v[177:178], v[83:84]
	v_fma_f64 v[39:40], v[39:40], v[163:164], v[115:116]
	v_fma_f64 v[41:42], v[41:42], v[163:164], -v[149:150]
	s_wait_loadcnt 0x4
	v_mul_f64_e32 v[145:146], v[73:74], v[215:216]
	v_mul_f64_e32 v[147:148], v[71:72], v[215:216]
	v_fma_f64 v[37:38], v[37:38], v[177:178], -v[85:86]
	s_wait_loadcnt 0x2
	v_mul_f64_e32 v[151:152], v[77:78], v[231:232]
	v_mul_f64_e32 v[153:154], v[75:76], v[231:232]
	s_wait_loadcnt 0x0
	v_mul_f64_e32 v[155:156], v[81:82], v[235:236]
	v_mul_f64_e32 v[157:158], v[79:80], v[235:236]
	v_fma_f64 v[43:44], v[43:44], v[159:160], v[117:118]
	v_fma_f64 v[45:46], v[45:46], v[159:160], -v[119:120]
	v_fma_f64 v[47:48], v[47:48], v[167:168], v[121:122]
	v_fma_f64 v[49:50], v[49:50], v[167:168], -v[123:124]
	s_clause 0x1
	scratch_store_b128 off, v[229:232], off offset:308
	scratch_store_b128 off, v[233:236], off offset:324
	v_fma_f64 v[51:52], v[51:52], v[171:172], v[125:126]
	v_fma_f64 v[53:54], v[53:54], v[171:172], -v[127:128]
	s_load_b64 s[8:9], s[0:1], 0x38
	s_load_b128 s[4:7], s[6:7], 0x0
	v_add_co_u32 v83, s12, s16, v176
	v_fma_f64 v[55:56], v[55:56], v[181:182], v[129:130]
	v_fma_f64 v[57:58], v[57:58], v[181:182], -v[131:132]
	s_wait_alu 0xf1ff
	v_add_co_ci_u32_e64 v84, null, s17, 0, s12
	v_fma_f64 v[59:60], v[59:60], v[185:186], v[133:134]
	v_fma_f64 v[61:62], v[61:62], v[185:186], -v[135:136]
	scratch_store_b64 off, v[83:84], off offset:4 ; 8-byte Folded Spill
	v_fma_f64 v[63:64], v[63:64], v[193:194], v[137:138]
	v_fma_f64 v[65:66], v[65:66], v[193:194], -v[139:140]
	v_fma_f64 v[67:68], v[67:68], v[201:202], v[141:142]
	v_fma_f64 v[69:70], v[69:70], v[201:202], -v[143:144]
	;; [unrolled: 2-line block ×3, first 2 shown]
	ds_store_b128 v176, v[7:10] offset:3600
	ds_store_b128 v176, v[43:46] offset:1440
	;; [unrolled: 1-line block ×16, first 2 shown]
	v_fma_f64 v[75:76], v[75:76], v[229:230], v[151:152]
	v_fma_f64 v[77:78], v[77:78], v[229:230], -v[153:154]
	v_fma_f64 v[79:80], v[79:80], v[233:234], v[155:156]
	v_fma_f64 v[81:82], v[81:82], v[233:234], -v[157:158]
	ds_store_b128 v176, v[39:42] offset:32400
	ds_store_b128 v176, v[75:78] offset:30240
	ds_store_b128 v176, v[3:6]
	ds_store_b128 v176, v[79:82] offset:33840
	s_and_saveexec_b32 s12, vcc_lo
	s_cbranch_execz .LBB0_3
; %bb.2:
	v_add_co_u32 v0, s2, v0, s2
	s_wait_alu 0xf1ff
	v_add_co_ci_u32_e64 v1, s2, s3, v1, s2
	s_delay_alu instid0(VALU_DEP_2) | instskip(SKIP_1) | instid1(VALU_DEP_2)
	v_add_co_u32 v8, s2, v0, s10
	s_wait_alu 0xf1ff
	v_add_co_ci_u32_e64 v9, s2, s11, v1, s2
	global_load_b128 v[0:3], v[0:1], off
	global_load_b128 v[4:7], v[8:9], off
	scratch_load_b64 v[72:73], off, off offset:4 ; 8-byte Folded Reload
	v_add_co_u32 v16, s2, v8, s10
	s_wait_alu 0xf1ff
	v_add_co_ci_u32_e64 v17, s2, s11, v9, s2
	s_wait_loadcnt 0x0
	s_clause 0x1
	global_load_b128 v[8:11], v[72:73], off offset:2880
	global_load_b128 v[12:15], v[72:73], off offset:6480
	v_add_co_u32 v20, s2, v16, s10
	s_wait_alu 0xf1ff
	v_add_co_ci_u32_e64 v21, s2, s11, v17, s2
	global_load_b128 v[16:19], v[16:17], off
	v_add_co_u32 v32, s2, v20, s10
	s_wait_alu 0xf1ff
	v_add_co_ci_u32_e64 v33, s2, s11, v21, s2
	global_load_b128 v[20:23], v[20:21], off
	v_add_co_u32 v36, s2, v32, s10
	s_wait_alu 0xf1ff
	v_add_co_ci_u32_e64 v37, s2, s11, v33, s2
	s_clause 0x1
	global_load_b128 v[24:27], v[72:73], off offset:10080
	global_load_b128 v[28:31], v[72:73], off offset:13680
	v_add_co_u32 v52, s2, v36, s10
	s_wait_alu 0xf1ff
	v_add_co_ci_u32_e64 v53, s2, s11, v37, s2
	global_load_b128 v[32:35], v[32:33], off
	global_load_b128 v[36:39], v[36:37], off
	s_clause 0x1
	global_load_b128 v[40:43], v[72:73], off offset:17280
	global_load_b128 v[44:47], v[72:73], off offset:20880
	global_load_b128 v[48:51], v[52:53], off
	v_add_co_u32 v56, s2, v52, s10
	s_wait_alu 0xf1ff
	v_add_co_ci_u32_e64 v57, s2, s11, v53, s2
	global_load_b128 v[52:55], v[72:73], off offset:24480
	v_add_co_u32 v64, s2, v56, s10
	s_wait_alu 0xf1ff
	v_add_co_ci_u32_e64 v65, s2, s11, v57, s2
	global_load_b128 v[56:59], v[56:57], off
	v_add_co_u32 v76, s2, v64, s10
	s_wait_alu 0xf1ff
	v_add_co_ci_u32_e64 v77, s2, s11, v65, s2
	global_load_b128 v[60:63], v[72:73], off offset:28080
	global_load_b128 v[64:67], v[64:65], off
	s_clause 0x1
	global_load_b128 v[68:71], v[72:73], off offset:31680
	global_load_b128 v[72:75], v[72:73], off offset:35280
	global_load_b128 v[76:79], v[76:77], off
	s_wait_loadcnt 0x11
	v_mul_f64_e32 v[80:81], v[2:3], v[10:11]
	s_wait_loadcnt 0x10
	v_mul_f64_e32 v[82:83], v[6:7], v[14:15]
	v_mul_f64_e32 v[14:15], v[4:5], v[14:15]
	;; [unrolled: 1-line block ×3, first 2 shown]
	s_wait_loadcnt 0xd
	v_mul_f64_e32 v[84:85], v[18:19], v[26:27]
	v_mul_f64_e32 v[26:27], v[16:17], v[26:27]
	s_wait_loadcnt 0xc
	v_mul_f64_e32 v[86:87], v[22:23], v[30:31]
	v_mul_f64_e32 v[30:31], v[20:21], v[30:31]
	;; [unrolled: 3-line block ×8, first 2 shown]
	v_fma_f64 v[0:1], v[0:1], v[8:9], v[80:81]
	v_fma_f64 v[4:5], v[4:5], v[12:13], v[82:83]
	v_fma_f64 v[6:7], v[6:7], v[12:13], -v[14:15]
	v_fma_f64 v[2:3], v[2:3], v[8:9], -v[10:11]
	v_fma_f64 v[8:9], v[16:17], v[24:25], v[84:85]
	v_fma_f64 v[10:11], v[18:19], v[24:25], -v[26:27]
	v_fma_f64 v[12:13], v[20:21], v[28:29], v[86:87]
	;; [unrolled: 2-line block ×8, first 2 shown]
	v_fma_f64 v[38:39], v[78:79], v[72:73], -v[74:75]
	ds_store_b128 v176, v[4:7] offset:6480
	ds_store_b128 v176, v[8:11] offset:10080
	;; [unrolled: 1-line block ×10, first 2 shown]
.LBB0_3:
	s_wait_alu 0xfffe
	s_or_b32 exec_lo, exec_lo, s12
	global_wb scope:SCOPE_SE
	s_wait_storecnt_dscnt 0x0
	s_wait_kmcnt 0x0
	s_barrier_signal -1
	s_barrier_wait -1
	global_inv scope:SCOPE_SE
	ds_load_b128 v[80:83], v176 offset:3600
	ds_load_b128 v[76:79], v176 offset:1440
	;; [unrolled: 1-line block ×18, first 2 shown]
	ds_load_b128 v[116:119], v176
	ds_load_b128 v[8:11], v176 offset:33840
                                        ; implicit-def: $vgpr60_vgpr61
                                        ; implicit-def: $vgpr0_vgpr1
                                        ; implicit-def: $vgpr32_vgpr33
                                        ; implicit-def: $vgpr4_vgpr5
                                        ; implicit-def: $vgpr44_vgpr45
                                        ; implicit-def: $vgpr28_vgpr29
                                        ; implicit-def: $vgpr52_vgpr53
                                        ; implicit-def: $vgpr36_vgpr37
                                        ; implicit-def: $vgpr56_vgpr57
                                        ; implicit-def: $vgpr48_vgpr49
	s_and_saveexec_b32 s2, vcc_lo
	s_cbranch_execz .LBB0_5
; %bb.4:
	ds_load_b128 v[0:3], v176 offset:6480
	ds_load_b128 v[32:35], v176 offset:10080
	;; [unrolled: 1-line block ×10, first 2 shown]
.LBB0_5:
	s_wait_alu 0xfffe
	s_or_b32 exec_lo, exec_lo, s2
	s_wait_dscnt 0x5
	v_add_f64_e32 v[122:123], v[108:109], v[100:101]
	v_add_f64_e32 v[126:127], v[110:111], v[102:103]
	;; [unrolled: 1-line block ×3, first 2 shown]
	s_wait_dscnt 0x1
	v_add_f64_e32 v[136:137], v[118:119], v[110:111]
	v_add_f64_e32 v[134:135], v[116:117], v[108:109]
	v_add_f64_e32 v[140:141], v[84:85], v[88:89]
	v_add_f64_e64 v[138:139], v[102:103], -v[106:107]
	v_add_f64_e32 v[142:143], v[98:99], v[94:95]
	v_add_f64_e64 v[146:147], v[96:97], -v[92:93]
	v_add_f64_e64 v[148:149], v[84:85], -v[96:97]
	;; [unrolled: 1-line block ×11, first 2 shown]
	s_wait_dscnt 0x0
	v_add_f64_e64 v[197:198], v[8:9], -v[12:13]
	v_add_f64_e64 v[199:200], v[12:13], -v[8:9]
	;; [unrolled: 1-line block ×5, first 2 shown]
	s_mov_b32 s2, 0x134454ff
	s_mov_b32 s3, 0x3fee6f0e
	v_add_f64_e64 v[172:173], v[74:75], -v[66:67]
	v_add_f64_e64 v[179:180], v[66:67], -v[42:43]
	s_mov_b32 s14, 0x4755a5e
	s_mov_b32 s15, 0x3fe2cf23
	;; [unrolled: 1-line block ×3, first 2 shown]
	s_wait_alu 0xfffe
	s_mov_b32 s12, s2
	v_add_f64_e64 v[189:190], v[18:19], -v[10:11]
	v_add_f64_e64 v[195:196], v[18:19], -v[22:23]
	;; [unrolled: 1-line block ×4, first 2 shown]
	s_mov_b32 s10, 0x372fe950
	s_mov_b32 s11, 0x3fd3c6ef
	v_fma_f64 v[124:125], v[122:123], -0.5, v[116:117]
	v_add_f64_e32 v[122:123], v[114:115], v[106:107]
	v_fma_f64 v[126:127], v[126:127], -0.5, v[118:119]
	v_fma_f64 v[120:121], v[120:121], -0.5, v[116:117]
	v_add_f64_e64 v[116:117], v[110:111], -v[102:103]
	v_add_f64_e32 v[134:135], v[134:135], v[112:113]
	v_add_f64_e32 v[136:137], v[136:137], v[114:115]
	v_fma_f64 v[140:141], v[140:141], -0.5, v[80:81]
	v_fma_f64 v[142:143], v[142:143], -0.5, v[82:83]
	s_mov_b32 s19, 0xbfe2cf23
	s_mov_b32 s18, s14
	;; [unrolled: 1-line block ×4, first 2 shown]
	v_add_f64_e64 v[247:248], v[4:5], -v[28:29]
	v_add_f64_e64 v[249:250], v[28:29], -v[4:5]
	;; [unrolled: 1-line block ×20, first 2 shown]
	v_fma_f64 v[122:123], v[122:123], -0.5, v[118:119]
	v_add_f64_e64 v[118:119], v[108:109], -v[112:113]
	scratch_store_b64 off, v[118:119], off offset:388 ; 8-byte Folded Spill
	v_add_f64_e64 v[118:119], v[112:113], -v[108:109]
	scratch_store_b64 off, v[120:121], off offset:340 ; 8-byte Folded Spill
	v_add_f64_e64 v[108:109], v[108:109], -v[100:101]
	v_add_f64_e64 v[112:113], v[112:113], -v[104:105]
	;; [unrolled: 1-line block ×3, first 2 shown]
	scratch_store_b64 off, v[118:119], off offset:356 ; 8-byte Folded Spill
	v_add_f64_e64 v[118:119], v[110:111], -v[114:115]
	v_add_f64_e64 v[110:111], v[114:115], -v[110:111]
	s_clause 0x1
	scratch_store_b64 off, v[118:119], off offset:404
	scratch_store_b64 off, v[110:111], off offset:372
	v_add_f64_e64 v[110:111], v[114:115], -v[106:107]
	v_add_f64_e32 v[114:115], v[134:135], v[104:105]
	v_add_f64_e64 v[118:119], v[100:101], -v[104:105]
	v_add_f64_e64 v[104:105], v[104:105], -v[100:101]
	v_add_f64_e32 v[134:135], v[136:137], v[106:107]
	v_add_f64_e64 v[106:107], v[106:107], -v[102:103]
	v_add_f64_e32 v[100:101], v[114:115], v[100:101]
	v_add_f64_e32 v[114:115], v[96:97], v[92:93]
	s_delay_alu instid0(VALU_DEP_4) | instskip(SKIP_1) | instid1(VALU_DEP_3)
	v_add_f64_e32 v[102:103], v[134:135], v[102:103]
	v_add_f64_e32 v[134:135], v[86:87], v[90:91]
	v_fma_f64 v[114:115], v[114:115], -0.5, v[80:81]
	v_add_f64_e32 v[80:81], v[80:81], v[84:85]
	s_delay_alu instid0(VALU_DEP_3) | instskip(SKIP_1) | instid1(VALU_DEP_3)
	v_fma_f64 v[134:135], v[134:135], -0.5, v[82:83]
	v_add_f64_e32 v[82:83], v[82:83], v[86:87]
	v_add_f64_e32 v[80:81], v[80:81], v[96:97]
	v_add_f64_e64 v[96:97], v[96:97], -v[84:85]
	v_add_f64_e64 v[84:85], v[84:85], -v[88:89]
	s_delay_alu instid0(VALU_DEP_4)
	v_add_f64_e32 v[82:83], v[82:83], v[98:99]
	v_add_f64_e64 v[98:99], v[98:99], -v[86:87]
	v_add_f64_e64 v[86:87], v[86:87], -v[90:91]
	v_add_f64_e32 v[80:81], v[80:81], v[92:93]
	v_add_f64_e64 v[92:93], v[92:93], -v[88:89]
	v_add_f64_e32 v[82:83], v[82:83], v[94:95]
	v_add_f64_e64 v[94:95], v[94:95], -v[90:91]
	s_delay_alu instid0(VALU_DEP_4) | instskip(SKIP_1) | instid1(VALU_DEP_4)
	v_add_f64_e32 v[80:81], v[80:81], v[88:89]
	v_add_f64_e32 v[88:89], v[72:73], v[64:65]
	v_add_f64_e32 v[82:83], v[82:83], v[90:91]
	v_add_f64_e64 v[90:91], v[72:73], -v[68:69]
	s_delay_alu instid0(VALU_DEP_3) | instskip(SKIP_1) | instid1(VALU_DEP_1)
	v_fma_f64 v[156:157], v[88:89], -0.5, v[76:77]
	v_add_f64_e32 v[88:89], v[68:69], v[40:41]
	v_fma_f64 v[158:159], v[88:89], -0.5, v[76:77]
	v_add_f64_e32 v[88:89], v[74:75], v[66:67]
	v_add_f64_e32 v[76:77], v[76:77], v[68:69]
	s_delay_alu instid0(VALU_DEP_2) | instskip(SKIP_1) | instid1(VALU_DEP_1)
	v_fma_f64 v[160:161], v[88:89], -0.5, v[78:79]
	v_add_f64_e32 v[88:89], v[70:71], v[42:43]
	v_fma_f64 v[162:163], v[88:89], -0.5, v[78:79]
	v_add_f64_e64 v[88:89], v[68:69], -v[72:73]
	v_add_f64_e32 v[68:69], v[76:77], v[72:73]
	v_add_f64_e64 v[76:77], v[40:41], -v[64:65]
	v_add_f64_e32 v[78:79], v[78:79], v[70:71]
	scratch_load_b64 v[72:73], off, off offset:340 th:TH_LOAD_LU ; 8-byte Folded Reload
	v_add_f64_e32 v[68:69], v[68:69], v[64:65]
	v_add_f64_e32 v[64:65], v[20:21], v[12:13]
	;; [unrolled: 1-line block ×3, first 2 shown]
	v_add_f64_e64 v[78:79], v[42:43], -v[66:67]
	v_fma_f64 v[74:75], v[108:109], s[2:3], v[122:123]
	v_add_f64_e32 v[40:41], v[68:69], v[40:41]
	v_fma_f64 v[181:182], v[64:65], -0.5, v[24:25]
	v_add_f64_e32 v[64:65], v[16:17], v[8:9]
	v_add_f64_e32 v[70:71], v[70:71], v[66:67]
	v_fma_f64 v[74:75], v[112:113], s[14:15], v[74:75]
	s_delay_alu instid0(VALU_DEP_3) | instskip(SKIP_4) | instid1(VALU_DEP_4)
	v_fma_f64 v[183:184], v[64:65], -0.5, v[24:25]
	v_add_f64_e32 v[24:25], v[24:25], v[16:17]
	v_add_f64_e32 v[64:65], v[22:23], v[14:15]
	v_add_f64_e64 v[16:17], v[16:17], -v[8:9]
	v_add_f64_e32 v[42:43], v[70:71], v[42:43]
	v_add_f64_e32 v[24:25], v[24:25], v[20:21]
	v_add_f64_e64 v[20:21], v[20:21], -v[12:13]
	v_fma_f64 v[185:186], v[64:65], -0.5, v[26:27]
	v_add_f64_e32 v[64:65], v[18:19], v[10:11]
	s_delay_alu instid0(VALU_DEP_4) | instskip(SKIP_1) | instid1(VALU_DEP_3)
	v_add_f64_e32 v[24:25], v[24:25], v[12:13]
	v_add_f64_e32 v[12:13], v[28:29], v[36:37]
	v_fma_f64 v[187:188], v[64:65], -0.5, v[26:27]
	v_add_f64_e32 v[26:27], v[26:27], v[18:19]
	v_add_f64_e64 v[18:19], v[22:23], -v[18:19]
	v_add_f64_e32 v[24:25], v[24:25], v[8:9]
	v_fma_f64 v[237:238], v[12:13], -0.5, v[0:1]
	v_add_f64_e32 v[12:13], v[4:5], v[48:49]
	v_add_f64_e32 v[8:9], v[44:45], v[52:53]
	;; [unrolled: 1-line block ×3, first 2 shown]
	v_add_f64_e64 v[22:23], v[22:23], -v[14:15]
	v_add_f64_e32 v[18:19], v[18:19], v[203:204]
	v_fma_f64 v[239:240], v[12:13], -0.5, v[0:1]
	v_add_f64_e32 v[12:13], v[30:31], v[38:39]
	v_fma_f64 v[205:206], v[8:9], -0.5, v[60:61]
	v_add_f64_e32 v[8:9], v[32:33], v[56:57]
	v_add_f64_e32 v[26:27], v[26:27], v[14:15]
	;; [unrolled: 1-line block ×3, first 2 shown]
	s_wait_alu 0xfffe
	v_fma_f64 v[14:15], v[84:85], s[12:13], v[142:143]
	v_add_f64_e32 v[4:5], v[100:101], v[80:81]
	v_fma_f64 v[241:242], v[12:13], -0.5, v[2:3]
	v_add_f64_e32 v[12:13], v[6:7], v[50:51]
	v_fma_f64 v[207:208], v[8:9], -0.5, v[60:61]
	v_add_f64_e32 v[8:9], v[46:47], v[54:55]
	v_add_f64_e32 v[26:27], v[26:27], v[10:11]
	;; [unrolled: 1-line block ×4, first 2 shown]
	v_fma_f64 v[14:15], v[146:147], s[18:19], v[14:15]
	v_add_f64_e64 v[28:29], v[48:49], -v[36:37]
	v_fma_f64 v[243:244], v[12:13], -0.5, v[2:3]
	scratch_load_b64 v[12:13], off, off offset:388 th:TH_LOAD_LU ; 8-byte Folded Reload
	v_fma_f64 v[209:210], v[8:9], -0.5, v[62:63]
	v_add_f64_e32 v[8:9], v[34:35], v[58:59]
	v_add_f64_e32 v[2:3], v[2:3], v[6:7]
	;; [unrolled: 1-line block ×4, first 2 shown]
	v_add_f64_e64 v[34:35], v[102:103], -v[82:83]
	v_fma_f64 v[211:212], v[8:9], -0.5, v[62:63]
	v_add_f64_e32 v[8:9], v[60:61], v[32:33]
	v_add_f64_e32 v[60:61], v[148:149], v[152:153]
	;; [unrolled: 1-line block ×7, first 2 shown]
	v_add_f64_e64 v[32:33], v[100:101], -v[80:81]
	v_add_f64_e32 v[8:9], v[8:9], v[44:45]
	v_fma_f64 v[14:15], v[62:63], s[10:11], v[14:15]
	v_add_f64_e32 v[2:3], v[2:3], v[38:39]
	v_add_f64_e32 v[10:11], v[10:11], v[58:59]
	s_delay_alu instid0(VALU_DEP_4) | instskip(SKIP_3) | instid1(VALU_DEP_4)
	v_add_f64_e32 v[8:9], v[8:9], v[52:53]
	v_add_f64_e32 v[52:53], v[96:97], v[92:93]
	;; [unrolled: 1-line block ×5, first 2 shown]
	v_add_f64_e64 v[8:9], v[30:31], -v[6:7]
	v_add_f64_e64 v[30:31], v[50:51], -v[38:39]
	v_add_f64_e32 v[6:7], v[102:103], v[82:83]
	s_delay_alu instid0(VALU_DEP_3) | instskip(SKIP_1) | instid1(VALU_DEP_1)
	v_add_f64_e32 v[8:9], v[8:9], v[120:121]
	v_fma_f64 v[120:121], v[227:228], s[2:3], v[211:212]
	v_fma_f64 v[120:121], v[215:216], s[18:19], v[120:121]
	s_wait_loadcnt 0x0
	v_add_f64_e32 v[64:65], v[12:13], v[118:119]
	scratch_load_b64 v[12:13], off, off offset:404 th:TH_LOAD_LU ; 8-byte Folded Reload
	s_wait_loadcnt 0x0
	v_add_f64_e32 v[66:67], v[12:13], v[138:139]
	v_fma_f64 v[12:13], v[86:87], s[2:3], v[114:115]
	s_delay_alu instid0(VALU_DEP_1) | instskip(NEXT) | instid1(VALU_DEP_1)
	v_fma_f64 v[12:13], v[144:145], s[14:15], v[12:13]
	v_fma_f64 v[12:13], v[60:61], s[10:11], v[12:13]
	s_delay_alu instid0(VALU_DEP_1) | instskip(SKIP_1) | instid1(VALU_DEP_2)
	v_mul_f64_e32 v[36:37], s[20:21], v[12:13]
	v_mul_f64_e32 v[12:13], s[18:19], v[12:13]
	v_fma_f64 v[36:37], v[14:15], s[14:15], v[36:37]
	s_delay_alu instid0(VALU_DEP_2) | instskip(SKIP_4) | instid1(VALU_DEP_4)
	v_fma_f64 v[38:39], v[14:15], s[20:21], v[12:13]
	v_fma_f64 v[12:13], v[116:117], s[2:3], v[72:73]
	;; [unrolled: 1-line block ×6, first 2 shown]
	s_delay_alu instid0(VALU_DEP_4) | instskip(NEXT) | instid1(VALU_DEP_4)
	v_fma_f64 v[14:15], v[112:113], s[18:19], v[14:15]
	v_fma_f64 v[72:73], v[110:111], s[18:19], v[72:73]
	s_delay_alu instid0(VALU_DEP_4) | instskip(NEXT) | instid1(VALU_DEP_4)
	v_fma_f64 v[122:123], v[215:216], s[14:15], v[122:123]
	v_fma_f64 v[44:45], v[64:65], s[10:11], v[12:13]
	;; [unrolled: 3-line block ×3, first 2 shown]
	v_fma_f64 v[66:67], v[66:67], s[10:11], v[74:75]
	v_add_f64_e64 v[72:73], v[40:41], -v[24:25]
	v_add_f64_e64 v[74:75], v[42:43], -v[26:27]
	v_add_f64_e32 v[12:13], v[44:45], v[36:37]
	v_add_f64_e64 v[44:45], v[44:45], -v[36:37]
	scratch_load_b64 v[36:37], off, off offset:356 th:TH_LOAD_LU ; 8-byte Folded Reload
	v_add_f64_e32 v[14:15], v[46:47], v[38:39]
	v_add_f64_e64 v[46:47], v[46:47], -v[38:39]
	v_fma_f64 v[38:39], v[144:145], s[12:13], v[140:141]
	s_delay_alu instid0(VALU_DEP_1) | instskip(NEXT) | instid1(VALU_DEP_1)
	v_fma_f64 v[38:39], v[86:87], s[14:15], v[38:39]
	v_fma_f64 v[38:39], v[52:53], s[10:11], v[38:39]
	s_wait_loadcnt 0x0
	v_add_f64_e32 v[56:57], v[36:37], v[104:105]
	scratch_load_b64 v[36:37], off, off offset:372 th:TH_LOAD_LU ; 8-byte Folded Reload
	s_wait_loadcnt 0x0
	v_add_f64_e32 v[58:59], v[36:37], v[106:107]
	v_fma_f64 v[36:37], v[146:147], s[2:3], v[134:135]
	s_delay_alu instid0(VALU_DEP_1) | instskip(NEXT) | instid1(VALU_DEP_1)
	v_fma_f64 v[36:37], v[84:85], s[18:19], v[36:37]
	v_fma_f64 v[36:37], v[54:55], s[10:11], v[36:37]
	s_delay_alu instid0(VALU_DEP_1) | instskip(NEXT) | instid1(VALU_DEP_1)
	v_mul_f64_e32 v[48:49], s[2:3], v[36:37]
	v_fma_f64 v[48:49], v[38:39], s[10:11], v[48:49]
	v_mul_f64_e32 v[38:39], s[12:13], v[38:39]
	s_delay_alu instid0(VALU_DEP_1) | instskip(SKIP_2) | instid1(VALU_DEP_2)
	v_fma_f64 v[50:51], v[36:37], s[10:11], v[38:39]
	v_fma_f64 v[36:37], v[110:111], s[12:13], v[124:125]
	;; [unrolled: 1-line block ×4, first 2 shown]
	s_delay_alu instid0(VALU_DEP_2) | instskip(NEXT) | instid1(VALU_DEP_2)
	v_fma_f64 v[38:39], v[108:109], s[18:19], v[38:39]
	v_fma_f64 v[68:69], v[56:57], s[10:11], v[36:37]
	s_delay_alu instid0(VALU_DEP_2) | instskip(NEXT) | instid1(VALU_DEP_2)
	v_fma_f64 v[70:71], v[58:59], s[10:11], v[38:39]
	v_add_f64_e32 v[36:37], v[68:69], v[48:49]
	v_add_f64_e64 v[48:49], v[68:69], -v[48:49]
	v_fma_f64 v[68:69], v[144:145], s[2:3], v[140:141]
	s_delay_alu instid0(VALU_DEP_4) | instskip(SKIP_1) | instid1(VALU_DEP_3)
	v_add_f64_e32 v[38:39], v[70:71], v[50:51]
	v_add_f64_e64 v[50:51], v[70:71], -v[50:51]
	v_fma_f64 v[68:69], v[86:87], s[18:19], v[68:69]
	s_delay_alu instid0(VALU_DEP_1)
	v_fma_f64 v[52:53], v[52:53], s[10:11], v[68:69]
	v_fma_f64 v[68:69], v[146:147], s[12:13], v[134:135]
	scratch_load_b32 v134, off, off         ; 4-byte Folded Reload
	global_wb scope:SCOPE_SE
	s_wait_loadcnt 0x0
	s_wait_storecnt 0x0
	s_barrier_signal -1
	s_barrier_wait -1
	global_inv scope:SCOPE_SE
	v_fma_f64 v[68:69], v[84:85], s[14:15], v[68:69]
	s_delay_alu instid0(VALU_DEP_1) | instskip(SKIP_3) | instid1(VALU_DEP_3)
	v_fma_f64 v[54:55], v[54:55], s[10:11], v[68:69]
	v_fma_f64 v[68:69], v[110:111], s[2:3], v[124:125]
	;; [unrolled: 1-line block ×3, first 2 shown]
	v_add_f64_e32 v[124:125], v[223:224], v[235:236]
	v_fma_f64 v[68:69], v[116:117], s[18:19], v[68:69]
	s_delay_alu instid0(VALU_DEP_3) | instskip(NEXT) | instid1(VALU_DEP_2)
	v_fma_f64 v[110:111], v[213:214], s[18:19], v[110:111]
	v_fma_f64 v[56:57], v[56:57], s[10:11], v[68:69]
	;; [unrolled: 1-line block ×3, first 2 shown]
	v_add_f64_e32 v[112:113], v[219:220], v[231:232]
	s_delay_alu instid0(VALU_DEP_2) | instskip(SKIP_1) | instid1(VALU_DEP_2)
	v_fma_f64 v[68:69], v[108:109], s[14:15], v[68:69]
	v_fma_f64 v[108:109], v[225:226], s[12:13], v[207:208]
	;; [unrolled: 1-line block ×3, first 2 shown]
	v_mul_f64_e32 v[68:69], s[10:11], v[52:53]
	s_delay_alu instid0(VALU_DEP_3) | instskip(NEXT) | instid1(VALU_DEP_2)
	v_fma_f64 v[108:109], v[213:214], s[14:15], v[108:109]
	v_fma_f64 v[68:69], v[54:55], s[2:3], -v[68:69]
	v_mul_f64_e32 v[54:55], s[10:11], v[54:55]
	s_delay_alu instid0(VALU_DEP_1) | instskip(NEXT) | instid1(VALU_DEP_3)
	v_fma_f64 v[70:71], v[52:53], s[12:13], -v[54:55]
	v_add_f64_e32 v[52:53], v[56:57], v[68:69]
	v_add_f64_e64 v[56:57], v[56:57], -v[68:69]
	v_fma_f64 v[68:69], v[86:87], s[12:13], v[114:115]
	v_fma_f64 v[114:115], v[215:216], s[12:13], v[209:210]
	v_add_f64_e32 v[54:55], v[58:59], v[70:71]
	v_add_f64_e64 v[58:59], v[58:59], -v[70:71]
	v_fma_f64 v[70:71], v[84:85], s[2:3], v[142:143]
	v_fma_f64 v[68:69], v[144:145], s[18:19], v[68:69]
	;; [unrolled: 1-line block ×3, first 2 shown]
	s_delay_alu instid0(VALU_DEP_3) | instskip(NEXT) | instid1(VALU_DEP_3)
	v_fma_f64 v[70:71], v[146:147], s[14:15], v[70:71]
	v_fma_f64 v[60:61], v[60:61], s[10:11], v[68:69]
	s_delay_alu instid0(VALU_DEP_2) | instskip(NEXT) | instid1(VALU_DEP_2)
	v_fma_f64 v[62:63], v[62:63], s[10:11], v[70:71]
	v_mul_f64_e32 v[68:69], s[20:21], v[60:61]
	s_delay_alu instid0(VALU_DEP_1) | instskip(SKIP_1) | instid1(VALU_DEP_1)
	v_fma_f64 v[68:69], v[62:63], s[14:15], -v[68:69]
	v_mul_f64_e32 v[62:63], s[20:21], v[62:63]
	v_fma_f64 v[70:71], v[60:61], s[18:19], -v[62:63]
	s_delay_alu instid0(VALU_DEP_3)
	v_add_f64_e32 v[60:61], v[64:65], v[68:69]
	v_add_f64_e64 v[64:65], v[64:65], -v[68:69]
	v_add_f64_e32 v[68:69], v[40:41], v[24:25]
	v_add_f64_e32 v[24:25], v[88:89], v[76:77]
	v_fma_f64 v[76:77], v[189:190], s[2:3], v[181:182]
	v_add_f64_e32 v[40:41], v[191:192], v[197:198]
	v_fma_f64 v[88:89], v[20:21], s[2:3], v[187:188]
	v_add_f64_e32 v[62:63], v[66:67], v[70:71]
	v_add_f64_e64 v[66:67], v[66:67], -v[70:71]
	v_add_f64_e32 v[70:71], v[42:43], v[26:27]
	v_add_f64_e32 v[26:27], v[168:169], v[78:79]
	v_fma_f64 v[78:79], v[16:17], s[12:13], v[185:186]
	v_fma_f64 v[76:77], v[22:23], s[14:15], v[76:77]
	v_add_f64_e32 v[42:43], v[195:196], v[201:202]
	v_fma_f64 v[88:89], v[16:17], s[18:19], v[88:89]
	s_delay_alu instid0(VALU_DEP_4) | instskip(NEXT) | instid1(VALU_DEP_4)
	v_fma_f64 v[78:79], v[20:21], s[18:19], v[78:79]
	v_fma_f64 v[76:77], v[40:41], s[10:11], v[76:77]
	s_delay_alu instid0(VALU_DEP_3) | instskip(NEXT) | instid1(VALU_DEP_3)
	v_fma_f64 v[88:89], v[18:19], s[10:11], v[88:89]
	v_fma_f64 v[78:79], v[42:43], s[10:11], v[78:79]
	s_delay_alu instid0(VALU_DEP_3) | instskip(SKIP_1) | instid1(VALU_DEP_4)
	v_mul_f64_e32 v[80:81], s[20:21], v[76:77]
	v_mul_f64_e32 v[76:77], s[18:19], v[76:77]
	;; [unrolled: 1-line block ×3, first 2 shown]
	s_delay_alu instid0(VALU_DEP_3) | instskip(NEXT) | instid1(VALU_DEP_3)
	v_fma_f64 v[80:81], v[78:79], s[14:15], v[80:81]
	v_fma_f64 v[82:83], v[78:79], s[20:21], v[76:77]
	;; [unrolled: 1-line block ×4, first 2 shown]
	s_delay_alu instid0(VALU_DEP_2) | instskip(NEXT) | instid1(VALU_DEP_2)
	v_fma_f64 v[76:77], v[172:173], s[14:15], v[76:77]
	v_fma_f64 v[78:79], v[174:175], s[18:19], v[78:79]
	s_delay_alu instid0(VALU_DEP_2) | instskip(NEXT) | instid1(VALU_DEP_2)
	v_fma_f64 v[84:85], v[24:25], s[10:11], v[76:77]
	v_fma_f64 v[86:87], v[26:27], s[10:11], v[78:79]
	s_delay_alu instid0(VALU_DEP_2)
	v_add_f64_e32 v[76:77], v[84:85], v[80:81]
	v_add_f64_e64 v[80:81], v[84:85], -v[80:81]
	v_add_f64_e32 v[84:85], v[90:91], v[177:178]
	v_fma_f64 v[90:91], v[22:23], s[12:13], v[183:184]
	v_add_f64_e32 v[78:79], v[86:87], v[82:83]
	v_add_f64_e64 v[82:83], v[86:87], -v[82:83]
	v_add_f64_e32 v[86:87], v[193:194], v[199:200]
	s_delay_alu instid0(VALU_DEP_4) | instskip(NEXT) | instid1(VALU_DEP_1)
	v_fma_f64 v[90:91], v[189:190], s[14:15], v[90:91]
	v_fma_f64 v[90:91], v[86:87], s[10:11], v[90:91]
	s_delay_alu instid0(VALU_DEP_1) | instskip(SKIP_1) | instid1(VALU_DEP_1)
	v_fma_f64 v[92:93], v[90:91], s[10:11], v[92:93]
	v_mul_f64_e32 v[90:91], s[12:13], v[90:91]
	v_fma_f64 v[94:95], v[88:89], s[10:11], v[90:91]
	v_fma_f64 v[88:89], v[172:173], s[12:13], v[158:159]
	;; [unrolled: 1-line block ×3, first 2 shown]
	s_delay_alu instid0(VALU_DEP_2) | instskip(NEXT) | instid1(VALU_DEP_2)
	v_fma_f64 v[88:89], v[164:165], s[14:15], v[88:89]
	v_fma_f64 v[90:91], v[166:167], s[18:19], v[90:91]
	s_delay_alu instid0(VALU_DEP_2) | instskip(NEXT) | instid1(VALU_DEP_2)
	v_fma_f64 v[98:99], v[84:85], s[10:11], v[88:89]
	v_fma_f64 v[100:101], v[96:97], s[10:11], v[90:91]
	s_delay_alu instid0(VALU_DEP_2) | instskip(SKIP_2) | instid1(VALU_DEP_4)
	v_add_f64_e32 v[88:89], v[98:99], v[92:93]
	v_add_f64_e64 v[92:93], v[98:99], -v[92:93]
	v_fma_f64 v[98:99], v[22:23], s[2:3], v[183:184]
	v_add_f64_e32 v[90:91], v[100:101], v[94:95]
	v_add_f64_e64 v[94:95], v[100:101], -v[94:95]
	s_delay_alu instid0(VALU_DEP_3) | instskip(NEXT) | instid1(VALU_DEP_1)
	v_fma_f64 v[98:99], v[189:190], s[18:19], v[98:99]
	v_fma_f64 v[86:87], v[86:87], s[10:11], v[98:99]
	;; [unrolled: 1-line block ×3, first 2 shown]
	s_delay_alu instid0(VALU_DEP_1) | instskip(SKIP_1) | instid1(VALU_DEP_2)
	v_fma_f64 v[98:99], v[16:17], s[14:15], v[98:99]
	v_fma_f64 v[16:17], v[16:17], s[2:3], v[185:186]
	;; [unrolled: 1-line block ×4, first 2 shown]
	s_delay_alu instid0(VALU_DEP_3) | instskip(NEXT) | instid1(VALU_DEP_2)
	v_fma_f64 v[16:17], v[20:21], s[14:15], v[16:17]
	v_fma_f64 v[98:99], v[164:165], s[18:19], v[98:99]
	s_delay_alu instid0(VALU_DEP_2) | instskip(NEXT) | instid1(VALU_DEP_2)
	v_fma_f64 v[16:17], v[42:43], s[10:11], v[16:17]
	v_fma_f64 v[84:85], v[84:85], s[10:11], v[98:99]
	;; [unrolled: 1-line block ×3, first 2 shown]
	s_delay_alu instid0(VALU_DEP_1) | instskip(NEXT) | instid1(VALU_DEP_1)
	v_fma_f64 v[98:99], v[166:167], s[14:15], v[98:99]
	v_fma_f64 v[102:103], v[96:97], s[10:11], v[98:99]
	v_mul_f64_e32 v[96:97], s[10:11], v[86:87]
	s_delay_alu instid0(VALU_DEP_1) | instskip(SKIP_1) | instid1(VALU_DEP_2)
	v_fma_f64 v[100:101], v[18:19], s[2:3], -v[96:97]
	v_mul_f64_e32 v[18:19], s[10:11], v[18:19]
	v_add_f64_e32 v[96:97], v[84:85], v[100:101]
	s_delay_alu instid0(VALU_DEP_2) | instskip(SKIP_3) | instid1(VALU_DEP_4)
	v_fma_f64 v[18:19], v[86:87], s[12:13], -v[18:19]
	v_add_f64_e64 v[100:101], v[84:85], -v[100:101]
	v_fma_f64 v[84:85], v[164:165], s[12:13], v[156:157]
	v_fma_f64 v[86:87], v[166:167], s[2:3], v[160:161]
	v_add_f64_e32 v[98:99], v[102:103], v[18:19]
	v_add_f64_e64 v[102:103], v[102:103], -v[18:19]
	v_fma_f64 v[18:19], v[189:190], s[12:13], v[181:182]
	s_delay_alu instid0(VALU_DEP_4) | instskip(NEXT) | instid1(VALU_DEP_2)
	v_fma_f64 v[20:21], v[174:175], s[14:15], v[86:87]
	v_fma_f64 v[18:19], v[22:23], s[18:19], v[18:19]
	;; [unrolled: 1-line block ×3, first 2 shown]
	s_delay_alu instid0(VALU_DEP_3) | instskip(SKIP_1) | instid1(VALU_DEP_4)
	v_fma_f64 v[20:21], v[26:27], s[10:11], v[20:21]
	v_fma_f64 v[26:27], v[251:252], s[2:3], v[241:242]
	;; [unrolled: 1-line block ×3, first 2 shown]
	s_delay_alu instid0(VALU_DEP_4) | instskip(NEXT) | instid1(VALU_DEP_3)
	v_fma_f64 v[22:23], v[24:25], s[10:11], v[22:23]
	v_fma_f64 v[26:27], v[130:131], s[14:15], v[26:27]
	s_delay_alu instid0(VALU_DEP_3) | instskip(NEXT) | instid1(VALU_DEP_1)
	v_mul_f64_e32 v[24:25], s[20:21], v[18:19]
	v_fma_f64 v[24:25], v[16:17], s[14:15], -v[24:25]
	v_mul_f64_e32 v[16:17], s[20:21], v[16:17]
	s_delay_alu instid0(VALU_DEP_2) | instskip(NEXT) | instid1(VALU_DEP_2)
	v_add_f64_e32 v[104:105], v[22:23], v[24:25]
	v_fma_f64 v[16:17], v[18:19], s[18:19], -v[16:17]
	v_add_f64_e64 v[116:117], v[22:23], -v[24:25]
	v_fma_f64 v[24:25], v[245:246], s[12:13], v[237:238]
	v_add_f64_e32 v[18:19], v[253:254], v[30:31]
	v_add_f64_e32 v[22:23], v[221:222], v[233:234]
	;; [unrolled: 1-line block ×3, first 2 shown]
	v_add_f64_e64 v[118:119], v[20:21], -v[16:17]
	v_add_f64_e32 v[16:17], v[247:248], v[28:29]
	v_fma_f64 v[24:25], v[128:129], s[18:19], v[24:25]
	v_fma_f64 v[26:27], v[18:19], s[10:11], v[26:27]
	v_add_f64_e32 v[20:21], v[217:218], v[229:230]
	s_delay_alu instid0(VALU_DEP_3) | instskip(NEXT) | instid1(VALU_DEP_1)
	v_fma_f64 v[24:25], v[16:17], s[10:11], v[24:25]
	v_mul_f64_e32 v[28:29], s[20:21], v[24:25]
	s_delay_alu instid0(VALU_DEP_1) | instskip(SKIP_2) | instid1(VALU_DEP_2)
	v_fma_f64 v[40:41], v[26:27], s[14:15], -v[28:29]
	v_fma_f64 v[28:29], v[215:216], s[2:3], v[209:210]
	v_mul_f64_e32 v[26:27], s[20:21], v[26:27]
	v_fma_f64 v[28:29], v[227:228], s[14:15], v[28:29]
	s_delay_alu instid0(VALU_DEP_2) | instskip(SKIP_1) | instid1(VALU_DEP_3)
	v_fma_f64 v[24:25], v[24:25], s[18:19], -v[26:27]
	v_fma_f64 v[26:27], v[213:214], s[12:13], v[205:206]
	v_fma_f64 v[42:43], v[22:23], s[10:11], v[28:29]
	s_delay_alu instid0(VALU_DEP_2) | instskip(NEXT) | instid1(VALU_DEP_2)
	v_fma_f64 v[26:27], v[225:226], s[18:19], v[26:27]
	v_add_f64_e32 v[30:31], v[42:43], v[24:25]
	v_add_f64_e64 v[86:87], v[42:43], -v[24:25]
	v_mul_lo_u16 v24, v134, 10
	s_delay_alu instid0(VALU_DEP_4) | instskip(SKIP_1) | instid1(VALU_DEP_3)
	v_fma_f64 v[26:27], v[20:21], s[10:11], v[26:27]
	v_fma_f64 v[42:43], v[213:214], s[2:3], v[205:206]
	v_and_b32_e32 v24, 0xffff, v24
	s_delay_alu instid0(VALU_DEP_1)
	v_lshlrev_b32_e32 v135, 4, v24
	ds_store_b128 v135, v[4:7]
	ds_store_b128 v135, v[12:15] offset:16
	v_fma_f64 v[4:5], v[245:246], s[2:3], v[237:238]
	v_fma_f64 v[6:7], v[128:129], s[2:3], v[239:240]
	;; [unrolled: 1-line block ×3, first 2 shown]
	v_add_f64_e32 v[14:15], v[249:250], v[132:133]
	v_fma_f64 v[24:25], v[130:131], s[2:3], v[243:244]
	ds_store_b128 v135, v[36:39] offset:32
	ds_store_b128 v135, v[52:55] offset:48
	;; [unrolled: 1-line block ×4, first 2 shown]
	v_add_f64_e64 v[32:33], v[136:137], -v[0:1]
	v_add_f64_e64 v[34:35], v[10:11], -v[2:3]
	ds_store_b128 v135, v[44:47] offset:96
	ds_store_b128 v135, v[48:51] offset:112
	;; [unrolled: 1-line block ×3, first 2 shown]
	scratch_store_b32 off, v135, off offset:436 ; 4-byte Folded Spill
	v_add_f64_e32 v[28:29], v[26:27], v[40:41]
	v_add_f64_e64 v[84:85], v[26:27], -v[40:41]
	v_fma_f64 v[40:41], v[251:252], s[12:13], v[241:242]
	v_fma_f64 v[26:27], v[130:131], s[12:13], v[243:244]
	;; [unrolled: 1-line block ×21, first 2 shown]
	v_mul_f64_e32 v[14:15], s[20:21], v[16:17]
	v_mul_f64_e32 v[16:17], s[18:19], v[16:17]
	s_delay_alu instid0(VALU_DEP_2) | instskip(NEXT) | instid1(VALU_DEP_2)
	v_fma_f64 v[14:15], v[18:19], s[14:15], v[14:15]
	v_fma_f64 v[24:25], v[18:19], s[20:21], v[16:17]
	v_mul_f64_e32 v[18:19], s[12:13], v[128:129]
	v_mul_f64_e32 v[16:17], s[2:3], v[130:131]
	s_delay_alu instid0(VALU_DEP_4) | instskip(NEXT) | instid1(VALU_DEP_4)
	v_add_f64_e64 v[36:37], v[4:5], -v[14:15]
	v_add_f64_e64 v[38:39], v[20:21], -v[24:25]
	s_delay_alu instid0(VALU_DEP_4) | instskip(SKIP_2) | instid1(VALU_DEP_3)
	v_fma_f64 v[40:41], v[130:131], s[10:11], v[18:19]
	v_mul_f64_e32 v[18:19], s[10:11], v[126:127]
	v_fma_f64 v[16:17], v[128:129], s[10:11], v[16:17]
	v_add_f64_e64 v[110:111], v[22:23], -v[40:41]
	s_delay_alu instid0(VALU_DEP_3) | instskip(SKIP_1) | instid1(VALU_DEP_4)
	v_fma_f64 v[18:19], v[8:9], s[2:3], -v[18:19]
	v_mul_f64_e32 v[8:9], s[10:11], v[8:9]
	v_add_f64_e64 v[108:109], v[6:7], -v[16:17]
	v_add_co_u32 v187, s2, 0x5a, v134
	s_wait_alu 0xf1ff
	v_add_co_ci_u32_e64 v144, null, 0, 0, s2
	s_load_b64 s[2:3], s[0:1], 0x8
	v_add_co_u32 v186, s0, 0xb4, v134
	v_add_f64_e64 v[112:113], v[12:13], -v[18:19]
	v_fma_f64 v[42:43], v[126:127], s[12:13], -v[8:9]
	v_mul_u32_u24_e32 v8, 10, v187
	s_delay_alu instid0(VALU_DEP_1)
	v_lshlrev_b32_e32 v177, 4, v8
	s_wait_alu 0xf1ff
	v_add_co_ci_u32_e64 v8, null, 0, 0, s0
	v_mul_u32_u24_e32 v8, 10, v186
	ds_store_b128 v135, v[64:67] offset:144
	ds_store_b128 v177, v[68:71]
	ds_store_b128 v177, v[76:79] offset:16
	ds_store_b128 v177, v[88:91] offset:32
	;; [unrolled: 1-line block ×5, first 2 shown]
	scratch_store_b32 off, v8, off offset:1356 ; 4-byte Folded Spill
	ds_store_b128 v177, v[80:83] offset:96
	ds_store_b128 v177, v[92:95] offset:112
	;; [unrolled: 1-line block ×4, first 2 shown]
	v_add_f64_e64 v[114:115], v[26:27], -v[42:43]
	s_and_saveexec_b32 s0, vcc_lo
	s_cbranch_execz .LBB0_7
; %bb.6:
	v_add_f64_e32 v[2:3], v[10:11], v[2:3]
	v_add_f64_e32 v[0:1], v[136:137], v[0:1]
	;; [unrolled: 1-line block ×8, first 2 shown]
	v_mul_u32_u24_e32 v4, 10, v186
	s_delay_alu instid0(VALU_DEP_1)
	v_lshlrev_b32_e32 v4, 4, v4
	ds_store_b128 v4, v[28:31] offset:64
	ds_store_b128 v4, v[32:35] offset:80
	;; [unrolled: 1-line block ×4, first 2 shown]
	ds_store_b128 v4, v[0:3]
	ds_store_b128 v4, v[40:43] offset:16
	ds_store_b128 v4, v[20:23] offset:32
	;; [unrolled: 1-line block ×5, first 2 shown]
.LBB0_7:
	s_wait_alu 0xfffe
	s_or_b32 exec_lo, exec_lo, s0
	global_wb scope:SCOPE_SE
	s_wait_storecnt_dscnt 0x0
	s_wait_kmcnt 0x0
	s_barrier_signal -1
	s_barrier_wait -1
	global_inv scope:SCOPE_SE
	ds_load_b128 v[64:67], v176 offset:1440
	ds_load_b128 v[60:63], v176 offset:2880
	ds_load_b128 v[100:103], v176 offset:13440
	ds_load_b128 v[92:95], v176 offset:14880
	ds_load_b128 v[96:99], v176 offset:25440
	ds_load_b128 v[88:91], v176 offset:26880
	ds_load_b128 v[56:59], v176 offset:4320
	ds_load_b128 v[52:55], v176 offset:5760
	ds_load_b128 v[80:83], v176 offset:16320
	ds_load_b128 v[12:15], v176 offset:17760
	ds_load_b128 v[76:79], v176 offset:28320
	ds_load_b128 v[8:11], v176 offset:29760
	ds_load_b128 v[48:51], v176 offset:7200
	ds_load_b128 v[44:47], v176 offset:8640
	ds_load_b128 v[24:27], v176 offset:19200
	ds_load_b128 v[20:23], v176 offset:20640
	ds_load_b128 v[16:19], v176 offset:31200
	ds_load_b128 v[0:3], v176 offset:32640
	ds_load_b128 v[116:119], v176 offset:12000
	ds_load_b128 v[40:43], v176 offset:10080
	ds_load_b128 v[104:107], v176 offset:24000
	ds_load_b128 v[72:75], v176 offset:22080
	ds_load_b128 v[68:71], v176
	ds_load_b128 v[4:7], v176 offset:34080
	scratch_load_b32 v120, off, off         ; 4-byte Folded Reload
	s_wait_loadcnt 0x0
	v_cmp_gt_u16_e64 s0, 30, v120
	s_delay_alu instid0(VALU_DEP_1)
	s_and_saveexec_b32 s1, s0
	s_cbranch_execz .LBB0_9
; %bb.8:
	ds_load_b128 v[32:35], v176 offset:23520
	ds_load_b128 v[28:31], v176 offset:11520
	ds_load_b128 v[36:39], v176 offset:35520
.LBB0_9:
	s_wait_alu 0xfffe
	s_or_b32 exec_lo, exec_lo, s1
	scratch_load_b32 v140, off, off         ; 4-byte Folded Reload
	v_and_b32_e32 v122, 0xffff, v186
	s_mov_b32 s10, 0xe8584caa
	s_mov_b32 s11, 0x3febb67a
	;; [unrolled: 1-line block ×3, first 2 shown]
	s_wait_alu 0xfffe
	s_mov_b32 s12, s10
	s_wait_loadcnt 0x0
	v_and_b32_e32 v120, 0xff, v140
	v_add_co_u32 v152, s1, 0x10e, v140
	s_wait_alu 0xf1ff
	v_add_co_ci_u32_e64 v153, null, 0, 0, s1
	s_delay_alu instid0(VALU_DEP_3) | instskip(SKIP_3) | instid1(VALU_DEP_3)
	v_mul_lo_u16 v120, 0xcd, v120
	v_add_co_u32 v154, s1, 0x168, v140
	s_wait_alu 0xf1ff
	v_add_co_ci_u32_e64 v155, null, 0, 0, s1
	v_lshrrev_b16 v123, 11, v120
	s_delay_alu instid0(VALU_DEP_1) | instskip(NEXT) | instid1(VALU_DEP_1)
	v_mul_lo_u16 v120, v123, 10
	v_sub_nc_u16 v120, v140, v120
	s_delay_alu instid0(VALU_DEP_1) | instskip(NEXT) | instid1(VALU_DEP_1)
	v_and_b32_e32 v124, 0xff, v120
	v_lshlrev_b32_e32 v120, 5, v124
	s_clause 0x1
	global_load_b128 v[125:128], v120, s[2:3]
	global_load_b128 v[129:132], v120, s[2:3] offset:16
	s_wait_loadcnt_dscnt 0x105
	v_mul_f64_e32 v[120:121], v[118:119], v[127:128]
	scratch_store_b128 off, v[125:128], off offset:420 ; 16-byte Folded Spill
	s_wait_loadcnt 0x0
	scratch_store_b128 off, v[129:132], off offset:504 ; 16-byte Folded Spill
	v_fma_f64 v[120:121], v[116:117], v[125:126], -v[120:121]
	v_mul_f64_e32 v[116:117], v[116:117], v[127:128]
	s_delay_alu instid0(VALU_DEP_1) | instskip(SKIP_3) | instid1(VALU_DEP_2)
	v_fma_f64 v[116:117], v[118:119], v[125:126], v[116:117]
	s_wait_dscnt 0x3
	v_mul_f64_e32 v[118:119], v[106:107], v[131:132]
	v_and_b32_e32 v125, 0xff, v187
	v_fma_f64 v[118:119], v[104:105], v[129:130], -v[118:119]
	v_mul_f64_e32 v[104:105], v[104:105], v[131:132]
	s_delay_alu instid0(VALU_DEP_1) | instskip(NEXT) | instid1(VALU_DEP_4)
	v_fma_f64 v[106:107], v[106:107], v[129:130], v[104:105]
	v_mul_lo_u16 v104, 0xcd, v125
	s_delay_alu instid0(VALU_DEP_1) | instskip(NEXT) | instid1(VALU_DEP_1)
	v_lshrrev_b16 v126, 11, v104
	v_mul_lo_u16 v104, v126, 10
	s_delay_alu instid0(VALU_DEP_1) | instskip(NEXT) | instid1(VALU_DEP_1)
	v_sub_nc_u16 v104, v187, v104
	v_and_b32_e32 v127, 0xff, v104
	s_delay_alu instid0(VALU_DEP_1)
	v_lshlrev_b32_e32 v104, 5, v127
	s_clause 0x1
	global_load_b128 v[128:131], v104, s[2:3]
	global_load_b128 v[132:135], v104, s[2:3] offset:16
	s_wait_loadcnt 0x1
	v_mul_f64_e32 v[104:105], v[102:103], v[130:131]
	scratch_store_b128 off, v[128:131], off offset:520 ; 16-byte Folded Spill
	s_wait_loadcnt 0x0
	scratch_store_b128 off, v[132:135], off offset:536 ; 16-byte Folded Spill
	v_fma_f64 v[104:105], v[100:101], v[128:129], -v[104:105]
	v_mul_f64_e32 v[100:101], v[100:101], v[130:131]
	s_delay_alu instid0(VALU_DEP_1) | instskip(SKIP_1) | instid1(VALU_DEP_1)
	v_fma_f64 v[100:101], v[102:103], v[128:129], v[100:101]
	v_mul_f64_e32 v[102:103], v[98:99], v[134:135]
	v_fma_f64 v[102:103], v[96:97], v[132:133], -v[102:103]
	v_mul_f64_e32 v[96:97], v[96:97], v[134:135]
	s_delay_alu instid0(VALU_DEP_1) | instskip(SKIP_1) | instid1(VALU_DEP_1)
	v_fma_f64 v[96:97], v[98:99], v[132:133], v[96:97]
	v_mul_u32_u24_e32 v98, 0xcccd, v122
	v_lshrrev_b32_e32 v128, 19, v98
	s_delay_alu instid0(VALU_DEP_1) | instskip(NEXT) | instid1(VALU_DEP_1)
	v_mul_lo_u16 v98, v128, 10
	v_sub_nc_u16 v129, v186, v98
	s_delay_alu instid0(VALU_DEP_1) | instskip(NEXT) | instid1(VALU_DEP_1)
	v_lshlrev_b16 v98, 1, v129
	v_and_b32_e32 v98, 0xffff, v98
	s_delay_alu instid0(VALU_DEP_1)
	v_lshlrev_b32_e32 v98, 4, v98
	s_clause 0x1
	global_load_b128 v[130:133], v98, s[2:3]
	global_load_b128 v[134:137], v98, s[2:3] offset:16
	s_wait_loadcnt 0x1
	v_mul_f64_e32 v[98:99], v[94:95], v[132:133]
	scratch_store_b128 off, v[130:133], off offset:552 ; 16-byte Folded Spill
	s_wait_loadcnt 0x0
	scratch_store_b128 off, v[134:137], off offset:568 ; 16-byte Folded Spill
	v_fma_f64 v[98:99], v[92:93], v[130:131], -v[98:99]
	v_mul_f64_e32 v[92:93], v[92:93], v[132:133]
	s_delay_alu instid0(VALU_DEP_1) | instskip(SKIP_1) | instid1(VALU_DEP_1)
	v_fma_f64 v[92:93], v[94:95], v[130:131], v[92:93]
	v_mul_f64_e32 v[94:95], v[90:91], v[136:137]
	v_fma_f64 v[94:95], v[88:89], v[134:135], -v[94:95]
	v_mul_f64_e32 v[88:89], v[88:89], v[136:137]
	s_delay_alu instid0(VALU_DEP_1) | instskip(SKIP_1) | instid1(VALU_DEP_1)
	v_fma_f64 v[88:89], v[90:91], v[134:135], v[88:89]
	v_and_b32_e32 v90, 0xffff, v152
	v_mul_u32_u24_e32 v91, 0xcccd, v90
	s_delay_alu instid0(VALU_DEP_1) | instskip(NEXT) | instid1(VALU_DEP_1)
	v_lshrrev_b32_e32 v151, 19, v91
	v_mul_lo_u16 v91, v151, 10
	s_delay_alu instid0(VALU_DEP_1) | instskip(NEXT) | instid1(VALU_DEP_1)
	v_sub_nc_u16 v178, v152, v91
	v_lshlrev_b16 v91, 1, v178
	s_delay_alu instid0(VALU_DEP_1) | instskip(NEXT) | instid1(VALU_DEP_1)
	v_and_b32_e32 v91, 0xffff, v91
	v_lshlrev_b32_e32 v91, 4, v91
	s_clause 0x1
	global_load_b128 v[145:148], v91, s[2:3]
	global_load_b128 v[134:137], v91, s[2:3] offset:16
	s_wait_loadcnt 0x1
	v_mul_f64_e32 v[130:131], v[82:83], v[147:148]
	scratch_store_b128 off, v[145:148], off offset:928 ; 16-byte Folded Spill
	s_wait_loadcnt 0x0
	scratch_store_b128 off, v[134:137], off offset:880 ; 16-byte Folded Spill
	v_fma_f64 v[130:131], v[80:81], v[145:146], -v[130:131]
	v_mul_f64_e32 v[80:81], v[80:81], v[147:148]
	s_delay_alu instid0(VALU_DEP_1) | instskip(SKIP_1) | instid1(VALU_DEP_1)
	v_fma_f64 v[80:81], v[82:83], v[145:146], v[80:81]
	v_mul_f64_e32 v[82:83], v[78:79], v[136:137]
	v_fma_f64 v[132:133], v[76:77], v[134:135], -v[82:83]
	v_mul_f64_e32 v[76:77], v[76:77], v[136:137]
	v_and_b32_e32 v82, 0xffff, v154
	s_delay_alu instid0(VALU_DEP_2) | instskip(NEXT) | instid1(VALU_DEP_2)
	v_fma_f64 v[134:135], v[78:79], v[134:135], v[76:77]
	v_mul_u32_u24_e32 v76, 0xcccd, v82
	s_delay_alu instid0(VALU_DEP_1) | instskip(NEXT) | instid1(VALU_DEP_1)
	v_lshrrev_b32_e32 v83, 19, v76
	v_mul_lo_u16 v76, v83, 10
	s_delay_alu instid0(VALU_DEP_1) | instskip(NEXT) | instid1(VALU_DEP_1)
	v_sub_nc_u16 v179, v154, v76
	v_lshlrev_b16 v76, 1, v179
	s_delay_alu instid0(VALU_DEP_1) | instskip(NEXT) | instid1(VALU_DEP_1)
	v_and_b32_e32 v76, 0xffff, v76
	v_lshlrev_b32_e32 v76, 4, v76
	s_clause 0x1
	global_load_b128 v[156:159], v76, s[2:3]
	global_load_b128 v[145:148], v76, s[2:3] offset:16
	s_wait_loadcnt 0x1
	v_mul_f64_e32 v[76:77], v[14:15], v[158:159]
	scratch_store_b128 off, v[156:159], off offset:992 ; 16-byte Folded Spill
	s_wait_loadcnt 0x0
	scratch_store_b128 off, v[145:148], off offset:976 ; 16-byte Folded Spill
	v_fma_f64 v[136:137], v[12:13], v[156:157], -v[76:77]
	v_mul_f64_e32 v[12:13], v[12:13], v[158:159]
	s_delay_alu instid0(VALU_DEP_1) | instskip(SKIP_1) | instid1(VALU_DEP_1)
	v_fma_f64 v[12:13], v[14:15], v[156:157], v[12:13]
	v_mul_f64_e32 v[14:15], v[10:11], v[147:148]
	v_fma_f64 v[14:15], v[8:9], v[145:146], -v[14:15]
	v_mul_f64_e32 v[8:9], v[8:9], v[147:148]
	s_delay_alu instid0(VALU_DEP_1) | instskip(SKIP_2) | instid1(VALU_DEP_2)
	v_fma_f64 v[138:139], v[10:11], v[145:146], v[8:9]
	v_add_nc_u16 v11, v140, 0x1c2
	v_add_co_u32 v10, null, 0x21c, v140
	v_and_b32_e32 v8, 0xffff, v11
	s_delay_alu instid0(VALU_DEP_1) | instskip(NEXT) | instid1(VALU_DEP_1)
	v_mul_u32_u24_e32 v8, 0xcccd, v8
	v_lshrrev_b32_e32 v180, 19, v8
	s_delay_alu instid0(VALU_DEP_1) | instskip(NEXT) | instid1(VALU_DEP_1)
	v_mul_lo_u16 v8, v180, 10
	v_sub_nc_u16 v181, v11, v8
	s_delay_alu instid0(VALU_DEP_1) | instskip(NEXT) | instid1(VALU_DEP_1)
	v_lshlrev_b16 v8, 1, v181
	v_and_b32_e32 v8, 0xffff, v8
	s_delay_alu instid0(VALU_DEP_1)
	v_lshlrev_b32_e32 v8, 4, v8
	s_clause 0x1
	global_load_b128 v[145:148], v8, s[2:3]
	global_load_b128 v[76:79], v8, s[2:3] offset:16
	s_wait_loadcnt 0x1
	v_mul_f64_e32 v[8:9], v[26:27], v[147:148]
	scratch_store_b128 off, v[145:148], off offset:1072 ; 16-byte Folded Spill
	s_wait_loadcnt 0x0
	scratch_store_b128 off, v[76:79], off offset:1056 ; 16-byte Folded Spill
	v_fma_f64 v[142:143], v[24:25], v[145:146], -v[8:9]
	v_mul_f64_e32 v[8:9], v[24:25], v[147:148]
	s_delay_alu instid0(VALU_DEP_1) | instskip(SKIP_1) | instid1(VALU_DEP_1)
	v_fma_f64 v[24:25], v[26:27], v[145:146], v[8:9]
	v_mul_f64_e32 v[8:9], v[18:19], v[78:79]
	v_fma_f64 v[26:27], v[16:17], v[76:77], -v[8:9]
	v_mul_f64_e32 v[8:9], v[16:17], v[78:79]
	s_delay_alu instid0(VALU_DEP_1) | instskip(SKIP_1) | instid1(VALU_DEP_1)
	v_fma_f64 v[16:17], v[18:19], v[76:77], v[8:9]
	v_and_b32_e32 v8, 0xffff, v10
	v_mul_u32_u24_e32 v8, 0xcccd, v8
	s_delay_alu instid0(VALU_DEP_1) | instskip(NEXT) | instid1(VALU_DEP_1)
	v_lshrrev_b32_e32 v182, 19, v8
	v_mul_lo_u16 v8, v182, 10
	s_delay_alu instid0(VALU_DEP_1) | instskip(NEXT) | instid1(VALU_DEP_1)
	v_sub_nc_u16 v183, v10, v8
	v_lshlrev_b16 v8, 1, v183
	s_delay_alu instid0(VALU_DEP_1) | instskip(NEXT) | instid1(VALU_DEP_1)
	v_and_b32_e32 v8, 0xffff, v8
	v_lshlrev_b32_e32 v8, 4, v8
	s_clause 0x1
	global_load_b128 v[145:148], v8, s[2:3]
	global_load_b128 v[76:79], v8, s[2:3] offset:16
	s_wait_loadcnt 0x1
	v_mul_f64_e32 v[8:9], v[22:23], v[147:148]
	scratch_store_b128 off, v[145:148], off offset:1120 ; 16-byte Folded Spill
	s_wait_loadcnt 0x0
	scratch_store_b128 off, v[76:79], off offset:1088 ; 16-byte Folded Spill
	v_fma_f64 v[18:19], v[20:21], v[145:146], -v[8:9]
	v_mul_f64_e32 v[8:9], v[20:21], v[147:148]
	s_delay_alu instid0(VALU_DEP_1) | instskip(SKIP_1) | instid1(VALU_DEP_1)
	v_fma_f64 v[20:21], v[22:23], v[145:146], v[8:9]
	v_mul_f64_e32 v[8:9], v[2:3], v[78:79]
	v_fma_f64 v[22:23], v[0:1], v[76:77], -v[8:9]
	v_mul_f64_e32 v[0:1], v[0:1], v[78:79]
	v_add_nc_u16 v9, v140, 0x276
	v_add_nc_u16 v8, v140, 0x2d0
	s_delay_alu instid0(VALU_DEP_3) | instskip(NEXT) | instid1(VALU_DEP_3)
	v_fma_f64 v[149:150], v[2:3], v[76:77], v[0:1]
	v_and_b32_e32 v0, 0xffff, v9
	s_delay_alu instid0(VALU_DEP_1) | instskip(NEXT) | instid1(VALU_DEP_1)
	v_mul_u32_u24_e32 v0, 0xcccd, v0
	v_lshrrev_b32_e32 v184, 19, v0
	s_delay_alu instid0(VALU_DEP_1) | instskip(NEXT) | instid1(VALU_DEP_1)
	v_mul_lo_u16 v0, v184, 10
	v_sub_nc_u16 v185, v9, v0
	s_delay_alu instid0(VALU_DEP_1) | instskip(NEXT) | instid1(VALU_DEP_1)
	v_lshlrev_b16 v0, 1, v185
	v_and_b32_e32 v0, 0xffff, v0
	s_delay_alu instid0(VALU_DEP_1)
	v_lshlrev_b32_e32 v0, 4, v0
	s_clause 0x1
	global_load_b128 v[145:148], v0, s[2:3]
	global_load_b128 v[76:79], v0, s[2:3] offset:16
	s_wait_loadcnt_dscnt 0x102
	v_mul_f64_e32 v[0:1], v[74:75], v[147:148]
	scratch_store_b128 off, v[145:148], off offset:1104 ; 16-byte Folded Spill
	s_wait_loadcnt 0x0
	scratch_store_b128 off, v[76:79], off offset:1024 ; 16-byte Folded Spill
	v_fma_f64 v[168:169], v[72:73], v[145:146], -v[0:1]
	v_mul_f64_e32 v[0:1], v[72:73], v[147:148]
	s_delay_alu instid0(VALU_DEP_1) | instskip(SKIP_2) | instid1(VALU_DEP_1)
	v_fma_f64 v[170:171], v[74:75], v[145:146], v[0:1]
	s_wait_dscnt 0x0
	v_mul_f64_e32 v[0:1], v[6:7], v[78:79]
	v_fma_f64 v[172:173], v[4:5], v[76:77], -v[0:1]
	v_mul_f64_e32 v[0:1], v[4:5], v[78:79]
	s_delay_alu instid0(VALU_DEP_1) | instskip(SKIP_1) | instid1(VALU_DEP_1)
	v_fma_f64 v[174:175], v[6:7], v[76:77], v[0:1]
	v_and_b32_e32 v0, 0xffff, v8
	v_mul_u32_u24_e32 v0, 0xcccd, v0
	s_delay_alu instid0(VALU_DEP_1) | instskip(NEXT) | instid1(VALU_DEP_1)
	v_lshrrev_b32_e32 v188, 19, v0
	v_mul_lo_u16 v0, v188, 10
	s_delay_alu instid0(VALU_DEP_1) | instskip(NEXT) | instid1(VALU_DEP_1)
	v_sub_nc_u16 v189, v8, v0
	v_lshlrev_b16 v0, 1, v189
	s_delay_alu instid0(VALU_DEP_1) | instskip(NEXT) | instid1(VALU_DEP_1)
	v_and_b32_e32 v0, 0xffff, v0
	v_lshlrev_b32_e32 v0, 4, v0
	s_clause 0x1
	global_load_b128 v[4:7], v0, s[2:3]
	global_load_b128 v[72:75], v0, s[2:3] offset:16
	s_wait_loadcnt 0x1
	v_mul_f64_e32 v[0:1], v[34:35], v[6:7]
	v_mul_f64_e32 v[2:3], v[32:33], v[6:7]
	scratch_store_b128 off, v[4:7], off offset:1040 ; 16-byte Folded Spill
	s_wait_loadcnt 0x0
	scratch_store_b128 off, v[72:75], off offset:1008 ; 16-byte Folded Spill
	global_wb scope:SCOPE_SE
	s_wait_storecnt 0x0
	s_barrier_signal -1
	s_barrier_wait -1
	global_inv scope:SCOPE_SE
	v_fma_f64 v[0:1], v[32:33], v[4:5], -v[0:1]
	v_fma_f64 v[6:7], v[34:35], v[4:5], v[2:3]
	v_mul_f64_e32 v[4:5], v[36:37], v[74:75]
	v_add_f64_e32 v[32:33], v[120:121], v[118:119]
	v_mul_f64_e32 v[2:3], v[38:39], v[74:75]
	s_delay_alu instid0(VALU_DEP_3) | instskip(NEXT) | instid1(VALU_DEP_3)
	v_fma_f64 v[4:5], v[38:39], v[72:73], v[4:5]
	v_fma_f64 v[38:39], v[32:33], -0.5, v[68:69]
	v_add_f64_e32 v[32:33], v[116:117], v[106:107]
	s_delay_alu instid0(VALU_DEP_4) | instskip(SKIP_2) | instid1(VALU_DEP_4)
	v_fma_f64 v[2:3], v[36:37], v[72:73], -v[2:3]
	v_add_f64_e32 v[36:37], v[68:69], v[120:121]
	v_add_f64_e64 v[68:69], v[116:117], -v[106:107]
	v_fma_f64 v[72:73], v[32:33], -0.5, v[70:71]
	v_add_f64_e32 v[32:33], v[70:71], v[116:117]
	v_add_f64_e64 v[70:71], v[120:121], -v[118:119]
	s_delay_alu instid0(VALU_DEP_2)
	v_add_f64_e32 v[34:35], v[32:33], v[106:107]
	v_add_f64_e32 v[32:33], v[36:37], v[118:119]
	v_fma_f64 v[36:37], v[68:69], s[10:11], v[38:39]
	s_wait_alu 0xfffe
	v_fma_f64 v[68:69], v[68:69], s[12:13], v[38:39]
	v_fma_f64 v[38:39], v[70:71], s[12:13], v[72:73]
	;; [unrolled: 1-line block ×3, first 2 shown]
	v_add_f64_e32 v[72:73], v[104:105], v[102:103]
	s_delay_alu instid0(VALU_DEP_1) | instskip(SKIP_2) | instid1(VALU_DEP_2)
	v_fma_f64 v[78:79], v[72:73], -0.5, v[64:65]
	v_add_f64_e32 v[72:73], v[100:101], v[96:97]
	v_add_f64_e32 v[64:65], v[64:65], v[104:105]
	v_fma_f64 v[106:107], v[72:73], -0.5, v[66:67]
	v_add_f64_e32 v[66:67], v[66:67], v[100:101]
	v_add_f64_e64 v[100:101], v[100:101], -v[96:97]
	s_delay_alu instid0(VALU_DEP_4) | instskip(SKIP_1) | instid1(VALU_DEP_4)
	v_add_f64_e32 v[72:73], v[64:65], v[102:103]
	v_add_f64_e64 v[64:65], v[104:105], -v[102:103]
	v_add_f64_e32 v[74:75], v[66:67], v[96:97]
	s_delay_alu instid0(VALU_DEP_4) | instskip(SKIP_1) | instid1(VALU_DEP_4)
	v_fma_f64 v[76:77], v[100:101], s[10:11], v[78:79]
	v_fma_f64 v[100:101], v[100:101], s[12:13], v[78:79]
	;; [unrolled: 1-line block ×4, first 2 shown]
	v_add_f64_e32 v[64:65], v[98:99], v[94:95]
	v_add_f64_e32 v[66:67], v[92:93], v[88:89]
	v_add_f64_e64 v[96:97], v[92:93], -v[88:89]
	s_delay_alu instid0(VALU_DEP_3) | instskip(SKIP_1) | instid1(VALU_DEP_4)
	v_fma_f64 v[64:65], v[64:65], -0.5, v[60:61]
	v_add_f64_e32 v[60:61], v[60:61], v[98:99]
	v_fma_f64 v[66:67], v[66:67], -0.5, v[62:63]
	v_add_f64_e32 v[62:63], v[62:63], v[92:93]
	s_delay_alu instid0(VALU_DEP_4) | instskip(NEXT) | instid1(VALU_DEP_4)
	v_fma_f64 v[91:92], v[96:97], s[10:11], v[64:65]
	v_add_f64_e32 v[104:105], v[60:61], v[94:95]
	v_add_f64_e64 v[60:61], v[98:99], -v[94:95]
	v_fma_f64 v[95:96], v[96:97], s[12:13], v[64:65]
	v_add_f64_e32 v[106:107], v[62:63], v[88:89]
	v_add_f64_e32 v[62:63], v[80:81], v[134:135]
	v_add_f64_e64 v[64:65], v[80:81], -v[134:135]
	v_fma_f64 v[93:94], v[60:61], s[12:13], v[66:67]
	v_fma_f64 v[97:98], v[60:61], s[10:11], v[66:67]
	v_add_f64_e32 v[60:61], v[130:131], v[132:133]
	v_fma_f64 v[62:63], v[62:63], -0.5, v[58:59]
	v_add_f64_e64 v[66:67], v[130:131], -v[132:133]
	v_add_f64_e32 v[58:59], v[58:59], v[80:81]
	s_delay_alu instid0(VALU_DEP_4) | instskip(SKIP_1) | instid1(VALU_DEP_4)
	v_fma_f64 v[60:61], v[60:61], -0.5, v[56:57]
	v_add_f64_e32 v[56:57], v[56:57], v[130:131]
	v_fma_f64 v[118:119], v[66:67], s[12:13], v[62:63]
	s_delay_alu instid0(VALU_DEP_4) | instskip(NEXT) | instid1(VALU_DEP_4)
	v_add_f64_e32 v[58:59], v[58:59], v[134:135]
	v_fma_f64 v[116:117], v[64:65], s[10:11], v[60:61]
	v_fma_f64 v[130:131], v[64:65], s[12:13], v[60:61]
	v_add_f64_e32 v[60:61], v[136:137], v[14:15]
	v_add_f64_e32 v[56:57], v[56:57], v[132:133]
	v_fma_f64 v[132:133], v[66:67], s[10:11], v[62:63]
	v_add_f64_e32 v[62:63], v[12:13], v[138:139]
	s_delay_alu instid0(VALU_DEP_4) | instskip(SKIP_1) | instid1(VALU_DEP_3)
	v_fma_f64 v[60:61], v[60:61], -0.5, v[52:53]
	v_add_f64_e32 v[52:53], v[52:53], v[136:137]
	v_fma_f64 v[62:63], v[62:63], -0.5, v[54:55]
	v_add_f64_e32 v[54:55], v[54:55], v[12:13]
	v_add_f64_e64 v[12:13], v[12:13], -v[138:139]
	s_delay_alu instid0(VALU_DEP_4) | instskip(SKIP_1) | instid1(VALU_DEP_4)
	v_add_f64_e32 v[52:53], v[52:53], v[14:15]
	v_add_f64_e64 v[14:15], v[136:137], -v[14:15]
	v_add_f64_e32 v[54:55], v[54:55], v[138:139]
	s_delay_alu instid0(VALU_DEP_4)
	v_fma_f64 v[134:135], v[12:13], s[10:11], v[60:61]
	v_fma_f64 v[138:139], v[12:13], s[12:13], v[60:61]
	v_add_f64_e32 v[12:13], v[142:143], v[26:27]
	v_fma_f64 v[136:137], v[14:15], s[12:13], v[62:63]
	v_fma_f64 v[140:141], v[14:15], s[10:11], v[62:63]
	v_add_f64_e32 v[14:15], v[24:25], v[16:17]
	s_delay_alu instid0(VALU_DEP_4) | instskip(SKIP_1) | instid1(VALU_DEP_3)
	v_fma_f64 v[12:13], v[12:13], -0.5, v[48:49]
	v_add_f64_e32 v[48:49], v[48:49], v[142:143]
	v_fma_f64 v[14:15], v[14:15], -0.5, v[50:51]
	v_add_f64_e32 v[50:51], v[50:51], v[24:25]
	v_add_f64_e64 v[24:25], v[24:25], -v[16:17]
	s_delay_alu instid0(VALU_DEP_4) | instskip(NEXT) | instid1(VALU_DEP_3)
	v_add_f64_e32 v[48:49], v[48:49], v[26:27]
	v_add_f64_e32 v[50:51], v[50:51], v[16:17]
	v_add_f64_e64 v[16:17], v[142:143], -v[26:27]
	s_delay_alu instid0(VALU_DEP_4)
	v_fma_f64 v[145:146], v[24:25], s[10:11], v[12:13]
	v_fma_f64 v[156:157], v[24:25], s[12:13], v[12:13]
	v_add_f64_e32 v[12:13], v[18:19], v[22:23]
	v_add_f64_e32 v[24:25], v[44:45], v[18:19]
	v_fma_f64 v[147:148], v[16:17], s[12:13], v[14:15]
	v_fma_f64 v[158:159], v[16:17], s[10:11], v[14:15]
	v_add_f64_e32 v[14:15], v[20:21], v[149:150]
	v_fma_f64 v[12:13], v[12:13], -0.5, v[44:45]
	v_add_f64_e32 v[16:17], v[46:47], v[20:21]
	v_add_f64_e64 v[20:21], v[20:21], -v[149:150]
	v_add_f64_e32 v[44:45], v[24:25], v[22:23]
	v_fma_f64 v[14:15], v[14:15], -0.5, v[46:47]
	s_delay_alu instid0(VALU_DEP_4)
	v_add_f64_e32 v[46:47], v[16:17], v[149:150]
	v_add_f64_e64 v[16:17], v[18:19], -v[22:23]
	v_fma_f64 v[160:161], v[20:21], s[10:11], v[12:13]
	v_fma_f64 v[164:165], v[20:21], s[12:13], v[12:13]
	v_add_f64_e32 v[12:13], v[168:169], v[172:173]
	v_add_f64_e32 v[18:19], v[40:41], v[168:169]
	v_add_f64_e64 v[20:21], v[170:171], -v[174:175]
	v_fma_f64 v[162:163], v[16:17], s[12:13], v[14:15]
	v_fma_f64 v[166:167], v[16:17], s[10:11], v[14:15]
	v_add_f64_e32 v[14:15], v[170:171], v[174:175]
	v_fma_f64 v[12:13], v[12:13], -0.5, v[40:41]
	v_add_f64_e32 v[16:17], v[42:43], v[170:171]
	v_add_f64_e32 v[40:41], v[18:19], v[172:173]
	s_delay_alu instid0(VALU_DEP_4) | instskip(NEXT) | instid1(VALU_DEP_3)
	v_fma_f64 v[14:15], v[14:15], -0.5, v[42:43]
	v_add_f64_e32 v[42:43], v[16:17], v[174:175]
	v_add_f64_e64 v[16:17], v[168:169], -v[172:173]
	v_fma_f64 v[168:169], v[20:21], s[10:11], v[12:13]
	v_fma_f64 v[172:173], v[20:21], s[12:13], v[12:13]
	v_add_f64_e32 v[12:13], v[0:1], v[2:3]
	s_delay_alu instid0(VALU_DEP_4) | instskip(SKIP_2) | instid1(VALU_DEP_4)
	v_fma_f64 v[170:171], v[16:17], s[12:13], v[14:15]
	v_fma_f64 v[174:175], v[16:17], s[10:11], v[14:15]
	v_add_f64_e32 v[14:15], v[6:7], v[4:5]
	v_fma_f64 v[12:13], v[12:13], -0.5, v[28:29]
	v_add_f64_e64 v[16:17], v[6:7], -v[4:5]
	s_delay_alu instid0(VALU_DEP_3) | instskip(NEXT) | instid1(VALU_DEP_2)
	v_fma_f64 v[14:15], v[14:15], -0.5, v[30:31]
	v_fma_f64 v[60:61], v[16:17], s[10:11], v[12:13]
	v_fma_f64 v[64:65], v[16:17], s[12:13], v[12:13]
	v_add_f64_e64 v[12:13], v[0:1], -v[2:3]
	s_delay_alu instid0(VALU_DEP_1) | instskip(SKIP_2) | instid1(VALU_DEP_1)
	v_fma_f64 v[62:63], v[12:13], s[12:13], v[14:15]
	v_fma_f64 v[66:67], v[12:13], s[10:11], v[14:15]
	v_and_b32_e32 v12, 0xffff, v123
	v_mul_u32_u24_e32 v12, 30, v12
	s_delay_alu instid0(VALU_DEP_1)
	v_add_lshl_u32 v12, v12, v124, 4
	ds_store_b128 v12, v[32:35]
	ds_store_b128 v12, v[36:39] offset:160
	scratch_store_b32 off, v12, off offset:648 ; 4-byte Folded Spill
	ds_store_b128 v12, v[68:71] offset:320
	v_and_b32_e32 v12, 0xffff, v126
	s_delay_alu instid0(VALU_DEP_1) | instskip(NEXT) | instid1(VALU_DEP_1)
	v_mul_u32_u24_e32 v12, 30, v12
	v_add_lshl_u32 v12, v12, v127, 4
	ds_store_b128 v12, v[72:75]
	ds_store_b128 v12, v[76:79] offset:160
	scratch_store_b32 off, v12, off offset:644 ; 4-byte Folded Spill
	ds_store_b128 v12, v[100:103] offset:320
	v_mad_u16 v12, v128, 30, v129
	s_delay_alu instid0(VALU_DEP_1) | instskip(NEXT) | instid1(VALU_DEP_1)
	v_and_b32_e32 v12, 0xffff, v12
	v_lshlrev_b32_e32 v12, 4, v12
	ds_store_b128 v12, v[104:107]
	ds_store_b128 v12, v[91:94] offset:160
	scratch_store_b32 off, v12, off offset:608 ; 4-byte Folded Spill
	ds_store_b128 v12, v[95:98] offset:320
	v_mad_u16 v12, v151, 30, v178
	s_delay_alu instid0(VALU_DEP_1) | instskip(NEXT) | instid1(VALU_DEP_1)
	v_and_b32_e32 v12, 0xffff, v12
	v_lshlrev_b32_e32 v12, 4, v12
	;; [unrolled: 8-line block ×6, first 2 shown]
	ds_store_b128 v12, v[40:43]
	ds_store_b128 v12, v[168:171] offset:160
	scratch_store_b32 off, v12, off offset:588 ; 4-byte Folded Spill
	ds_store_b128 v12, v[172:175] offset:320
	v_mad_u16 v12, v188, 30, v189
	scratch_store_b32 off, v12, off offset:584 ; 4-byte Folded Spill
	s_and_saveexec_b32 s1, s0
	s_cbranch_execz .LBB0_11
; %bb.10:
	v_add_f64_e32 v[0:1], v[28:29], v[0:1]
	v_add_f64_e32 v[6:7], v[30:31], v[6:7]
	s_delay_alu instid0(VALU_DEP_2) | instskip(SKIP_4) | instid1(VALU_DEP_1)
	v_add_f64_e32 v[2:3], v[0:1], v[2:3]
	scratch_load_b32 v0, off, off offset:584 ; 4-byte Folded Reload
	v_add_f64_e32 v[4:5], v[6:7], v[4:5]
	s_wait_loadcnt 0x0
	v_and_b32_e32 v0, 0xffff, v0
	v_lshlrev_b32_e32 v0, 4, v0
	ds_store_b128 v0, v[2:5]
	ds_store_b128 v0, v[60:63] offset:160
	ds_store_b128 v0, v[64:67] offset:320
.LBB0_11:
	s_wait_alu 0xfffe
	s_or_b32 exec_lo, exec_lo, s1
	v_mul_lo_u16 v0, 0x89, v125
	global_wb scope:SCOPE_SE
	s_wait_storecnt_dscnt 0x0
	s_barrier_signal -1
	s_barrier_wait -1
	global_inv scope:SCOPE_SE
	v_lshrrev_b16 v4, 12, v0
	s_mov_b32 s14, 0x134454ff
	s_mov_b32 s15, 0x3fee6f0e
	s_mov_b32 s19, 0xbfee6f0e
	s_wait_alu 0xfffe
	s_mov_b32 s18, s14
	v_mul_lo_u16 v0, v4, 30
	s_mov_b32 s10, 0x4755a5e
	s_mov_b32 s11, 0x3fe2cf23
	;; [unrolled: 1-line block ×3, first 2 shown]
	s_wait_alu 0xfffe
	s_mov_b32 s12, s10
	v_sub_nc_u16 v0, v187, v0
	s_mov_b32 s20, 0x372fe950
	s_mov_b32 s21, 0x3fd3c6ef
	v_and_b32_e32 v4, 0xffff, v4
	s_delay_alu instid0(VALU_DEP_2) | instskip(NEXT) | instid1(VALU_DEP_2)
	v_and_b32_e32 v5, 0xff, v0
	v_mul_u32_u24_e32 v4, 0x96, v4
	s_delay_alu instid0(VALU_DEP_2)
	v_lshlrev_b32_e32 v0, 6, v5
	global_load_b128 v[20:23], v0, s[2:3] offset:320
	scratch_load_b32 v2, off, off           ; 4-byte Folded Reload
	s_clause 0x1
	global_load_b128 v[103:106], v0, s[2:3] offset:336
	global_load_b128 v[99:102], v0, s[2:3] offset:352
	v_add_lshl_u32 v4, v4, v5, 4
	s_wait_loadcnt 0x2
	v_and_b32_e32 v1, 0xff, v2
	s_delay_alu instid0(VALU_DEP_1) | instskip(NEXT) | instid1(VALU_DEP_1)
	v_mul_lo_u16 v1, 0x89, v1
	v_lshrrev_b16 v6, 12, v1
	s_delay_alu instid0(VALU_DEP_1) | instskip(SKIP_1) | instid1(VALU_DEP_2)
	v_mul_lo_u16 v1, v6, 30
	v_and_b32_e32 v6, 0xffff, v6
	v_sub_nc_u16 v1, v2, v1
	s_delay_alu instid0(VALU_DEP_2) | instskip(NEXT) | instid1(VALU_DEP_2)
	v_mul_u32_u24_e32 v6, 0x96, v6
	v_and_b32_e32 v7, 0xff, v1
	s_delay_alu instid0(VALU_DEP_1) | instskip(NEXT) | instid1(VALU_DEP_3)
	v_lshlrev_b32_e32 v1, 6, v7
	v_add_lshl_u32 v6, v6, v7, 4
	s_clause 0x3
	global_load_b128 v[95:98], v0, s[2:3] offset:368
	global_load_b128 v[116:119], v1, s[2:3] offset:320
	global_load_b128 v[139:142], v1, s[2:3] offset:336
	global_load_b128 v[123:126], v1, s[2:3] offset:352
	v_mul_u32_u24_e32 v0, 0x8889, v122
	global_load_b128 v[135:138], v1, s[2:3] offset:368
	v_lshrrev_b32_e32 v83, 20, v0
	s_delay_alu instid0(VALU_DEP_1) | instskip(NEXT) | instid1(VALU_DEP_1)
	v_mul_lo_u16 v0, v83, 30
	v_sub_nc_u16 v88, v186, v0
	s_delay_alu instid0(VALU_DEP_1) | instskip(NEXT) | instid1(VALU_DEP_1)
	v_lshlrev_b16 v0, 6, v88
	v_and_b32_e32 v0, 0xffff, v0
	s_delay_alu instid0(VALU_DEP_1)
	v_add_co_u32 v68, s1, s2, v0
	s_wait_alu 0xf1ff
	v_add_co_ci_u32_e64 v69, null, s3, 0, s1
	s_clause 0x1
	global_load_b128 v[127:130], v[68:69], off offset:320
	global_load_b128 v[131:134], v[68:69], off offset:336
	ds_load_b128 v[56:59], v176 offset:8640
	ds_load_b128 v[52:55], v176 offset:15840
	;; [unrolled: 1-line block ×10, first 2 shown]
	scratch_store_b128 off, v[20:23], off offset:340 ; 16-byte Folded Spill
	s_wait_loadcnt 0x8
	scratch_store_b128 off, v[103:106], off offset:388 ; 16-byte Folded Spill
	s_wait_loadcnt 0x7
	scratch_store_b128 off, v[99:102], off offset:372 ; 16-byte Folded Spill
	s_wait_dscnt 0x9
	v_mul_f64_e32 v[70:71], v[58:59], v[22:23]
	s_wait_dscnt 0x8
	v_mul_f64_e32 v[74:75], v[54:55], v[105:106]
	v_mul_f64_e32 v[76:77], v[52:53], v[105:106]
	;; [unrolled: 1-line block ×3, first 2 shown]
	s_wait_dscnt 0x7
	v_mul_f64_e32 v[78:79], v[46:47], v[101:102]
	v_mul_f64_e32 v[80:81], v[44:45], v[101:102]
	v_fma_f64 v[18:19], v[56:57], v[20:21], -v[70:71]
	v_fma_f64 v[24:25], v[52:53], v[103:104], -v[74:75]
	v_fma_f64 v[26:27], v[54:55], v[103:104], v[76:77]
	ds_load_b128 v[52:55], v176 offset:21600
	v_fma_f64 v[20:21], v[58:59], v[20:21], v[72:73]
	v_fma_f64 v[58:59], v[44:45], v[99:100], -v[78:79]
	v_fma_f64 v[70:71], v[46:47], v[99:100], v[80:81]
	ds_load_b128 v[44:47], v176 offset:20160
	s_wait_loadcnt_dscnt 0x607
	v_mul_f64_e32 v[14:15], v[48:49], v[97:98]
	s_wait_loadcnt_dscnt 0x506
	v_mul_f64_e32 v[16:17], v[38:39], v[118:119]
	;; [unrolled: 2-line block ×3, first 2 shown]
	v_mul_f64_e32 v[22:23], v[36:37], v[118:119]
	v_mul_f64_e32 v[72:73], v[32:33], v[141:142]
	;; [unrolled: 1-line block ×3, first 2 shown]
	scratch_store_b128 off, v[116:119], off offset:404 ; 16-byte Folded Spill
	s_wait_loadcnt 0x3
	s_clause 0x2
	scratch_store_b128 off, v[123:126], off offset:440
	scratch_store_b128 off, v[95:98], off offset:356
	;; [unrolled: 1-line block ×3, first 2 shown]
	s_wait_loadcnt 0x2
	scratch_store_b128 off, v[135:138], off offset:488 ; 16-byte Folded Spill
	v_fma_f64 v[14:15], v[50:51], v[95:96], v[14:15]
	v_fma_f64 v[16:17], v[36:37], v[116:117], -v[16:17]
	s_wait_dscnt 0x1
	v_mul_f64_e32 v[36:37], v[52:53], v[125:126]
	v_fma_f64 v[56:57], v[32:33], v[139:140], -v[56:57]
	v_mul_f64_e32 v[32:33], v[40:41], v[137:138]
	s_wait_loadcnt 0x1
	v_mul_f64_e32 v[50:51], v[2:3], v[129:130]
	v_fma_f64 v[72:73], v[34:35], v[139:140], v[72:73]
	v_fma_f64 v[22:23], v[38:39], v[116:117], v[22:23]
	v_mul_f64_e32 v[38:39], v[42:43], v[137:138]
	scratch_store_b128 off, v[127:130], off offset:456 ; 16-byte Folded Spill
	s_wait_loadcnt 0x0
	scratch_store_b128 off, v[131:134], off offset:472 ; 16-byte Folded Spill
	v_fma_f64 v[12:13], v[48:49], v[95:96], -v[12:13]
	v_mul_f64_e32 v[48:49], v[54:55], v[125:126]
	v_fma_f64 v[76:77], v[54:55], v[123:124], v[36:37]
	v_mul_f64_e32 v[36:37], v[0:1], v[129:130]
	v_fma_f64 v[80:81], v[42:43], v[135:136], v[32:33]
	ds_load_b128 v[32:35], v176 offset:17280
	v_fma_f64 v[103:104], v[0:1], v[127:128], -v[50:51]
	v_fma_f64 v[78:79], v[40:41], v[135:136], -v[38:39]
	;; [unrolled: 1-line block ×3, first 2 shown]
	v_fma_f64 v[105:106], v[2:3], v[127:128], v[36:37]
	ds_load_b128 v[0:3], v176 offset:18720
	s_wait_dscnt 0x1
	v_mul_f64_e32 v[36:37], v[34:35], v[133:134]
	s_delay_alu instid0(VALU_DEP_1) | instskip(SKIP_1) | instid1(VALU_DEP_1)
	v_fma_f64 v[116:117], v[32:33], v[131:132], -v[36:37]
	v_mul_f64_e32 v[32:33], v[32:33], v[133:134]
	v_fma_f64 v[118:119], v[34:35], v[131:132], v[32:33]
	s_clause 0x1
	global_load_b128 v[38:41], v[68:69], off offset:352
	global_load_b128 v[34:37], v[68:69], off offset:368
	v_add_f64_e64 v[68:69], v[56:57], -v[74:75]
	s_wait_loadcnt 0x1
	v_mul_f64_e32 v[32:33], v[30:31], v[40:41]
	scratch_store_b128 off, v[38:41], off offset:768 ; 16-byte Folded Spill
	s_wait_loadcnt 0x0
	scratch_store_b128 off, v[34:37], off offset:752 ; 16-byte Folded Spill
	v_fma_f64 v[120:121], v[28:29], v[38:39], -v[32:33]
	v_mul_f64_e32 v[28:29], v[28:29], v[40:41]
	s_delay_alu instid0(VALU_DEP_1) | instskip(SKIP_3) | instid1(VALU_DEP_1)
	v_fma_f64 v[122:123], v[30:31], v[38:39], v[28:29]
	ds_load_b128 v[28:31], v176 offset:31680
	s_wait_dscnt 0x0
	v_mul_f64_e32 v[32:33], v[30:31], v[36:37]
	v_fma_f64 v[124:125], v[28:29], v[34:35], -v[32:33]
	v_mul_f64_e32 v[28:29], v[28:29], v[36:37]
	s_delay_alu instid0(VALU_DEP_1) | instskip(SKIP_1) | instid1(VALU_DEP_1)
	v_fma_f64 v[126:127], v[30:31], v[34:35], v[28:29]
	v_mul_u32_u24_e32 v28, 0x8889, v90
	v_lshrrev_b32_e32 v107, 20, v28
	s_delay_alu instid0(VALU_DEP_1) | instskip(NEXT) | instid1(VALU_DEP_1)
	v_mul_lo_u16 v28, v107, 30
	v_sub_nc_u16 v151, v152, v28
	s_delay_alu instid0(VALU_DEP_1) | instskip(NEXT) | instid1(VALU_DEP_1)
	v_lshlrev_b16 v28, 6, v151
	v_and_b32_e32 v28, 0xffff, v28
	s_delay_alu instid0(VALU_DEP_1)
	v_add_co_u32 v36, s1, s2, v28
	s_wait_alu 0xf1ff
	v_add_co_ci_u32_e64 v37, null, s3, 0, s1
	s_clause 0x1
	global_load_b128 v[48:51], v[36:37], off offset:320
	global_load_b128 v[40:43], v[36:37], off offset:336
	ds_load_b128 v[28:31], v176 offset:11520
	ds_load_b128 v[32:35], v176 offset:12960
	s_wait_loadcnt_dscnt 0x101
	v_mul_f64_e32 v[38:39], v[30:31], v[50:51]
	scratch_store_b128 off, v[48:51], off offset:816 ; 16-byte Folded Spill
	s_wait_loadcnt 0x0
	scratch_store_b128 off, v[40:43], off offset:784 ; 16-byte Folded Spill
	v_fma_f64 v[89:90], v[28:29], v[48:49], -v[38:39]
	v_mul_f64_e32 v[28:29], v[28:29], v[50:51]
	s_delay_alu instid0(VALU_DEP_1) | instskip(SKIP_1) | instid1(VALU_DEP_1)
	v_fma_f64 v[132:133], v[30:31], v[48:49], v[28:29]
	v_mul_f64_e32 v[28:29], v[2:3], v[42:43]
	v_fma_f64 v[134:135], v[0:1], v[40:41], -v[28:29]
	v_mul_f64_e32 v[0:1], v[0:1], v[42:43]
	s_delay_alu instid0(VALU_DEP_1)
	v_fma_f64 v[136:137], v[2:3], v[40:41], v[0:1]
	s_clause 0x1
	global_load_b128 v[38:41], v[36:37], off offset:352
	global_load_b128 v[48:51], v[36:37], off offset:368
	ds_load_b128 v[0:3], v176 offset:25920
	ds_load_b128 v[28:31], v176 offset:27360
	s_wait_loadcnt_dscnt 0x101
	v_mul_f64_e32 v[36:37], v[2:3], v[40:41]
	scratch_store_b128 off, v[38:41], off offset:832 ; 16-byte Folded Spill
	v_fma_f64 v[138:139], v[0:1], v[38:39], -v[36:37]
	v_mul_f64_e32 v[0:1], v[0:1], v[40:41]
	s_delay_alu instid0(VALU_DEP_1)
	v_fma_f64 v[140:141], v[2:3], v[38:39], v[0:1]
	ds_load_b128 v[0:3], v176 offset:33120
	ds_load_b128 v[36:39], v176 offset:34560
	s_wait_loadcnt 0x0
	scratch_store_b128 off, v[48:51], off offset:800 ; 16-byte Folded Spill
	s_wait_dscnt 0x1
	v_mul_f64_e32 v[40:41], v[2:3], v[50:51]
	s_delay_alu instid0(VALU_DEP_1) | instskip(SKIP_1) | instid1(VALU_DEP_1)
	v_fma_f64 v[142:143], v[0:1], v[48:49], -v[40:41]
	v_mul_f64_e32 v[0:1], v[0:1], v[50:51]
	v_fma_f64 v[145:146], v[2:3], v[48:49], v[0:1]
	v_mul_u32_u24_e32 v0, 0x8889, v82
	s_delay_alu instid0(VALU_DEP_1) | instskip(NEXT) | instid1(VALU_DEP_1)
	v_lshrrev_b32_e32 v82, 20, v0
	v_mul_lo_u16 v0, v82, 30
	s_delay_alu instid0(VALU_DEP_1) | instskip(NEXT) | instid1(VALU_DEP_1)
	v_sub_nc_u16 v170, v154, v0
	v_lshlrev_b16 v0, 6, v170
	s_delay_alu instid0(VALU_DEP_1) | instskip(NEXT) | instid1(VALU_DEP_1)
	v_and_b32_e32 v0, 0xffff, v0
	v_add_co_u32 v0, s1, s2, v0
	s_wait_alu 0xf1ff
	v_add_co_ci_u32_e64 v1, null, s3, 0, s1
	s_clause 0x1
	global_load_b128 v[48:51], v[0:1], off offset:320
	global_load_b128 v[40:43], v[0:1], off offset:336
	s_wait_loadcnt 0x1
	v_mul_f64_e32 v[2:3], v[34:35], v[50:51]
	scratch_store_b128 off, v[48:51], off offset:912 ; 16-byte Folded Spill
	s_wait_loadcnt 0x0
	scratch_store_b128 off, v[40:43], off offset:864 ; 16-byte Folded Spill
	v_fma_f64 v[149:150], v[32:33], v[48:49], -v[2:3]
	v_mul_f64_e32 v[2:3], v[32:33], v[50:51]
	v_add_f64_e64 v[50:51], v[24:25], -v[58:59]
	s_delay_alu instid0(VALU_DEP_2) | instskip(SKIP_2) | instid1(VALU_DEP_2)
	v_fma_f64 v[156:157], v[34:35], v[48:49], v[2:3]
	v_mul_f64_e32 v[2:3], v[46:47], v[42:43]
	v_add_f64_e64 v[48:49], v[18:19], -v[12:13]
	v_fma_f64 v[158:159], v[44:45], v[40:41], -v[2:3]
	v_mul_f64_e32 v[2:3], v[44:45], v[42:43]
	v_add_f64_e64 v[44:45], v[20:21], -v[14:15]
	s_delay_alu instid0(VALU_DEP_2)
	v_fma_f64 v[160:161], v[46:47], v[40:41], v[2:3]
	s_clause 0x1
	global_load_b128 v[40:43], v[0:1], off offset:352
	global_load_b128 v[32:35], v[0:1], off offset:368
	v_add_f64_e64 v[2:3], v[12:13], -v[58:59]
	v_add_f64_e64 v[46:47], v[26:27], -v[70:71]
	s_wait_loadcnt 0x1
	v_mul_f64_e32 v[0:1], v[30:31], v[42:43]
	scratch_store_b128 off, v[40:43], off offset:896 ; 16-byte Folded Spill
	s_wait_loadcnt 0x0
	scratch_store_b128 off, v[32:35], off offset:848 ; 16-byte Folded Spill
	v_fma_f64 v[162:163], v[28:29], v[40:41], -v[0:1]
	v_mul_f64_e32 v[0:1], v[28:29], v[42:43]
	s_delay_alu instid0(VALU_DEP_1) | instskip(SKIP_2) | instid1(VALU_DEP_1)
	v_fma_f64 v[164:165], v[30:31], v[40:41], v[0:1]
	s_wait_dscnt 0x0
	v_mul_f64_e32 v[0:1], v[38:39], v[34:35]
	v_fma_f64 v[166:167], v[36:37], v[32:33], -v[0:1]
	v_mul_f64_e32 v[0:1], v[36:37], v[34:35]
	s_delay_alu instid0(VALU_DEP_1) | instskip(SKIP_2) | instid1(VALU_DEP_2)
	v_fma_f64 v[168:169], v[38:39], v[32:33], v[0:1]
	v_add_f64_e64 v[0:1], v[18:19], -v[24:25]
	v_add_f64_e32 v[32:33], v[24:25], v[58:59]
	v_add_f64_e32 v[36:37], v[0:1], v[2:3]
	v_add_f64_e64 v[0:1], v[20:21], -v[26:27]
	v_add_f64_e64 v[2:3], v[14:15], -v[70:71]
	s_delay_alu instid0(VALU_DEP_1)
	v_add_f64_e32 v[38:39], v[0:1], v[2:3]
	ds_load_b128 v[0:3], v176 offset:1440
	ds_load_b128 v[28:31], v176
	s_wait_dscnt 0x1
	v_fma_f64 v[40:41], v[32:33], -0.5, v[0:1]
	v_add_f64_e32 v[32:33], v[26:27], v[70:71]
	s_delay_alu instid0(VALU_DEP_1) | instskip(NEXT) | instid1(VALU_DEP_3)
	v_fma_f64 v[42:43], v[32:33], -0.5, v[2:3]
	v_fma_f64 v[32:33], v[44:45], s[14:15], v[40:41]
	v_fma_f64 v[40:41], v[44:45], s[18:19], v[40:41]
	s_delay_alu instid0(VALU_DEP_3) | instskip(SKIP_1) | instid1(VALU_DEP_4)
	v_fma_f64 v[34:35], v[48:49], s[18:19], v[42:43]
	v_fma_f64 v[42:43], v[48:49], s[14:15], v[42:43]
	;; [unrolled: 1-line block ×3, first 2 shown]
	s_wait_alu 0xfffe
	s_delay_alu instid0(VALU_DEP_4) | instskip(NEXT) | instid1(VALU_DEP_4)
	v_fma_f64 v[40:41], v[46:47], s[12:13], v[40:41]
	v_fma_f64 v[34:35], v[50:51], s[12:13], v[34:35]
	s_delay_alu instid0(VALU_DEP_4) | instskip(NEXT) | instid1(VALU_DEP_4)
	v_fma_f64 v[42:43], v[50:51], s[10:11], v[42:43]
	v_fma_f64 v[32:33], v[36:37], s[20:21], v[32:33]
	s_delay_alu instid0(VALU_DEP_4) | instskip(SKIP_4) | instid1(VALU_DEP_4)
	v_fma_f64 v[36:37], v[36:37], s[20:21], v[40:41]
	v_add_f64_e32 v[40:41], v[18:19], v[12:13]
	v_fma_f64 v[34:35], v[38:39], s[20:21], v[34:35]
	v_fma_f64 v[38:39], v[38:39], s[20:21], v[42:43]
	v_add_f64_e32 v[42:43], v[20:21], v[14:15]
	v_fma_f64 v[40:41], v[40:41], -0.5, v[0:1]
	v_add_f64_e32 v[0:1], v[0:1], v[18:19]
	v_add_f64_e64 v[18:19], v[24:25], -v[18:19]
	s_delay_alu instid0(VALU_DEP_4) | instskip(SKIP_4) | instid1(VALU_DEP_4)
	v_fma_f64 v[42:43], v[42:43], -0.5, v[2:3]
	v_add_f64_e32 v[2:3], v[2:3], v[20:21]
	v_add_f64_e64 v[20:21], v[26:27], -v[20:21]
	v_add_f64_e32 v[0:1], v[0:1], v[24:25]
	v_add_f64_e64 v[24:25], v[58:59], -v[12:13]
	v_add_f64_e32 v[2:3], v[2:3], v[26:27]
	v_fma_f64 v[26:27], v[46:47], s[14:15], v[40:41]
	s_delay_alu instid0(VALU_DEP_4) | instskip(NEXT) | instid1(VALU_DEP_4)
	v_add_f64_e32 v[0:1], v[0:1], v[58:59]
	v_add_f64_e32 v[18:19], v[18:19], v[24:25]
	v_add_f64_e64 v[58:59], v[16:17], -v[78:79]
	v_add_f64_e32 v[2:3], v[2:3], v[70:71]
	s_delay_alu instid0(VALU_DEP_4) | instskip(SKIP_1) | instid1(VALU_DEP_3)
	v_add_f64_e32 v[0:1], v[0:1], v[12:13]
	v_add_f64_e64 v[12:13], v[70:71], -v[14:15]
	v_add_f64_e32 v[2:3], v[2:3], v[14:15]
	v_fma_f64 v[14:15], v[46:47], s[18:19], v[40:41]
	v_fma_f64 v[40:41], v[50:51], s[14:15], v[42:43]
	;; [unrolled: 1-line block ×3, first 2 shown]
	v_add_f64_e32 v[12:13], v[20:21], v[12:13]
	v_fma_f64 v[20:21], v[44:45], s[12:13], v[26:27]
	v_fma_f64 v[14:15], v[44:45], s[10:11], v[14:15]
	;; [unrolled: 1-line block ×4, first 2 shown]
	s_delay_alu instid0(VALU_DEP_4)
	v_fma_f64 v[44:45], v[18:19], s[20:21], v[20:21]
	v_add_f64_e32 v[20:21], v[72:73], v[76:77]
	v_fma_f64 v[40:41], v[18:19], s[20:21], v[14:15]
	v_fma_f64 v[42:43], v[12:13], s[20:21], v[24:25]
	;; [unrolled: 1-line block ×3, first 2 shown]
	v_add_f64_e64 v[12:13], v[16:17], -v[56:57]
	v_add_f64_e64 v[14:15], v[78:79], -v[74:75]
	;; [unrolled: 1-line block ×3, first 2 shown]
	s_wait_dscnt 0x0
	v_fma_f64 v[20:21], v[20:21], -0.5, v[30:31]
	v_add_f64_e64 v[24:25], v[22:23], -v[80:81]
	v_add_f64_e64 v[26:27], v[72:73], -v[76:77]
	v_add_f64_e32 v[12:13], v[12:13], v[14:15]
	v_add_f64_e64 v[14:15], v[22:23], -v[72:73]
	v_fma_f64 v[50:51], v[58:59], s[18:19], v[20:21]
	v_fma_f64 v[20:21], v[58:59], s[14:15], v[20:21]
	s_delay_alu instid0(VALU_DEP_3) | instskip(SKIP_1) | instid1(VALU_DEP_3)
	v_add_f64_e32 v[14:15], v[14:15], v[18:19]
	v_add_f64_e32 v[18:19], v[56:57], v[74:75]
	v_fma_f64 v[20:21], v[68:69], s[10:11], v[20:21]
	v_fma_f64 v[50:51], v[68:69], s[12:13], v[50:51]
	s_delay_alu instid0(VALU_DEP_3) | instskip(NEXT) | instid1(VALU_DEP_3)
	v_fma_f64 v[18:19], v[18:19], -0.5, v[28:29]
	v_fma_f64 v[54:55], v[14:15], s[20:21], v[20:21]
	v_add_f64_e32 v[20:21], v[30:31], v[22:23]
	s_delay_alu instid0(VALU_DEP_4)
	v_fma_f64 v[50:51], v[14:15], s[20:21], v[50:51]
	v_add_f64_e32 v[14:15], v[22:23], v[80:81]
	v_add_f64_e64 v[22:23], v[72:73], -v[22:23]
	v_fma_f64 v[48:49], v[24:25], s[14:15], v[18:19]
	v_fma_f64 v[18:19], v[24:25], s[18:19], v[18:19]
	v_add_f64_e32 v[20:21], v[20:21], v[72:73]
	v_fma_f64 v[14:15], v[14:15], -0.5, v[30:31]
	s_delay_alu instid0(VALU_DEP_4) | instskip(NEXT) | instid1(VALU_DEP_4)
	v_fma_f64 v[48:49], v[26:27], s[10:11], v[48:49]
	v_fma_f64 v[18:19], v[26:27], s[12:13], v[18:19]
	s_delay_alu instid0(VALU_DEP_4) | instskip(NEXT) | instid1(VALU_DEP_3)
	v_add_f64_e32 v[20:21], v[20:21], v[76:77]
	v_fma_f64 v[48:49], v[12:13], s[20:21], v[48:49]
	s_delay_alu instid0(VALU_DEP_3) | instskip(SKIP_4) | instid1(VALU_DEP_4)
	v_fma_f64 v[52:53], v[12:13], s[20:21], v[18:19]
	v_add_f64_e32 v[18:19], v[28:29], v[16:17]
	v_add_f64_e32 v[12:13], v[16:17], v[78:79]
	v_add_f64_e64 v[16:17], v[56:57], -v[16:17]
	v_add_f64_e32 v[30:31], v[20:21], v[80:81]
	v_add_f64_e32 v[18:19], v[18:19], v[56:57]
	s_delay_alu instid0(VALU_DEP_4) | instskip(SKIP_1) | instid1(VALU_DEP_3)
	v_fma_f64 v[12:13], v[12:13], -0.5, v[28:29]
	v_add_f64_e64 v[56:57], v[74:75], -v[78:79]
	v_add_f64_e32 v[18:19], v[18:19], v[74:75]
	s_delay_alu instid0(VALU_DEP_3)
	v_fma_f64 v[20:21], v[26:27], s[18:19], v[12:13]
	v_fma_f64 v[12:13], v[26:27], s[14:15], v[12:13]
	;; [unrolled: 1-line block ×4, first 2 shown]
	v_add_f64_e32 v[16:17], v[16:17], v[56:57]
	v_add_f64_e32 v[28:29], v[18:19], v[78:79]
	v_add_f64_e64 v[18:19], v[76:77], -v[80:81]
	v_fma_f64 v[12:13], v[24:25], s[12:13], v[12:13]
	v_fma_f64 v[20:21], v[24:25], s[10:11], v[20:21]
	;; [unrolled: 1-line block ×3, first 2 shown]
	ds_load_b128 v[68:71], v176 offset:2880
	ds_load_b128 v[76:79], v176 offset:4320
	v_add_f64_e64 v[80:81], v[116:117], -v[120:121]
	global_wb scope:SCOPE_SE
	s_wait_storecnt_dscnt 0x0
	s_barrier_signal -1
	s_barrier_wait -1
	global_inv scope:SCOPE_SE
	v_add_f64_e32 v[18:19], v[22:23], v[18:19]
	v_fma_f64 v[72:73], v[16:17], s[20:21], v[12:13]
	v_add_f64_e64 v[12:13], v[103:104], -v[116:117]
	v_fma_f64 v[22:23], v[58:59], s[12:13], v[26:27]
	v_fma_f64 v[56:57], v[16:17], s[20:21], v[20:21]
	v_add_f64_e64 v[16:17], v[126:127], -v[122:123]
	v_add_f64_e64 v[20:21], v[105:106], -v[126:127]
	;; [unrolled: 1-line block ×3, first 2 shown]
	v_fma_f64 v[74:75], v[18:19], s[20:21], v[14:15]
	v_add_f64_e64 v[14:15], v[124:125], -v[120:121]
	v_fma_f64 v[58:59], v[18:19], s[20:21], v[22:23]
	v_add_f64_e32 v[18:19], v[118:119], v[122:123]
	v_add_f64_e64 v[22:23], v[118:119], -v[122:123]
	ds_store_b128 v6, v[28:31]
	ds_store_b128 v6, v[48:51] offset:480
	ds_store_b128 v6, v[56:59] offset:960
	;; [unrolled: 1-line block ×3, first 2 shown]
	v_add_f64_e32 v[12:13], v[12:13], v[14:15]
	v_add_f64_e64 v[14:15], v[105:106], -v[118:119]
	v_fma_f64 v[18:19], v[18:19], -0.5, v[70:71]
	scratch_store_b32 off, v6, off offset:748 ; 4-byte Folded Spill
	ds_store_b128 v6, v[52:55] offset:1920
	ds_store_b128 v4, v[0:3]
	ds_store_b128 v4, v[32:35] offset:480
	ds_store_b128 v4, v[40:43] offset:960
	;; [unrolled: 1-line block ×3, first 2 shown]
	v_mad_u16 v0, 0x96, v83, v88
	scratch_store_b32 off, v4, off offset:744 ; 4-byte Folded Spill
	ds_store_b128 v4, v[36:39] offset:1920
	v_and_b32_e32 v0, 0xffff, v0
	s_delay_alu instid0(VALU_DEP_1) | instskip(SKIP_4) | instid1(VALU_DEP_3)
	v_lshlrev_b32_e32 v0, 4, v0
	v_add_f64_e32 v[14:15], v[14:15], v[16:17]
	v_add_f64_e32 v[16:17], v[116:117], v[120:121]
	v_fma_f64 v[95:96], v[26:27], s[18:19], v[18:19]
	v_fma_f64 v[18:19], v[26:27], s[14:15], v[18:19]
	v_fma_f64 v[16:17], v[16:17], -0.5, v[68:69]
	s_delay_alu instid0(VALU_DEP_3) | instskip(NEXT) | instid1(VALU_DEP_3)
	v_fma_f64 v[97:98], v[80:81], s[12:13], v[95:96]
	v_fma_f64 v[18:19], v[80:81], s[10:11], v[18:19]
	s_delay_alu instid0(VALU_DEP_3) | instskip(SKIP_1) | instid1(VALU_DEP_3)
	v_fma_f64 v[24:25], v[20:21], s[14:15], v[16:17]
	v_fma_f64 v[16:17], v[20:21], s[18:19], v[16:17]
	v_fma_f64 v[101:102], v[14:15], s[20:21], v[18:19]
	v_add_f64_e32 v[18:19], v[70:71], v[105:106]
	v_fma_f64 v[97:98], v[14:15], s[20:21], v[97:98]
	v_add_f64_e32 v[14:15], v[105:106], v[126:127]
	v_fma_f64 v[24:25], v[22:23], s[10:11], v[24:25]
	v_fma_f64 v[16:17], v[22:23], s[12:13], v[16:17]
	v_add_f64_e32 v[18:19], v[18:19], v[118:119]
	s_delay_alu instid0(VALU_DEP_4)
	v_fma_f64 v[14:15], v[14:15], -0.5, v[70:71]
	v_add_f64_e64 v[70:71], v[120:121], -v[124:125]
	v_fma_f64 v[95:96], v[12:13], s[20:21], v[24:25]
	v_fma_f64 v[99:100], v[12:13], s[20:21], v[16:17]
	v_add_f64_e32 v[16:17], v[68:69], v[103:104]
	v_add_f64_e32 v[12:13], v[103:104], v[124:125]
	;; [unrolled: 1-line block ×3, first 2 shown]
	v_add_f64_e64 v[24:25], v[116:117], -v[103:104]
	s_delay_alu instid0(VALU_DEP_4) | instskip(NEXT) | instid1(VALU_DEP_4)
	v_add_f64_e32 v[16:17], v[16:17], v[116:117]
	v_fma_f64 v[12:13], v[12:13], -0.5, v[68:69]
	v_add_f64_e64 v[68:69], v[118:119], -v[105:106]
	v_add_f64_e32 v[105:106], v[18:19], v[126:127]
	v_add_f64_e32 v[24:25], v[24:25], v[70:71]
	;; [unrolled: 1-line block ×3, first 2 shown]
	v_fma_f64 v[18:19], v[22:23], s[18:19], v[12:13]
	v_fma_f64 v[12:13], v[22:23], s[14:15], v[12:13]
	;; [unrolled: 1-line block ×4, first 2 shown]
	v_add_f64_e64 v[80:81], v[138:139], -v[142:143]
	v_add_f64_e32 v[103:104], v[16:17], v[124:125]
	v_add_f64_e64 v[16:17], v[122:123], -v[126:127]
	v_fma_f64 v[12:13], v[20:21], s[12:13], v[12:13]
	v_fma_f64 v[18:19], v[20:21], s[10:11], v[18:19]
	;; [unrolled: 1-line block ×4, first 2 shown]
	v_add_f64_e64 v[26:27], v[89:90], -v[142:143]
	v_add_f64_e64 v[22:23], v[136:137], -v[140:141]
	v_add_f64_e32 v[16:17], v[68:69], v[16:17]
	v_fma_f64 v[120:121], v[24:25], s[20:21], v[12:13]
	v_add_f64_e64 v[12:13], v[89:90], -v[134:135]
	v_fma_f64 v[116:117], v[24:25], s[20:21], v[18:19]
	v_add_f64_e32 v[18:19], v[136:137], v[140:141]
	v_add_f64_e64 v[68:69], v[134:135], -v[138:139]
	v_fma_f64 v[122:123], v[16:17], s[20:21], v[14:15]
	v_add_f64_e64 v[14:15], v[142:143], -v[138:139]
	v_fma_f64 v[118:119], v[16:17], s[20:21], v[20:21]
	v_add_f64_e64 v[16:17], v[145:146], -v[140:141]
	v_fma_f64 v[18:19], v[18:19], -0.5, v[78:79]
	v_add_f64_e64 v[20:21], v[132:133], -v[145:146]
	ds_store_b128 v0, v[103:106]
	ds_store_b128 v0, v[95:98] offset:480
	ds_store_b128 v0, v[116:119] offset:960
	;; [unrolled: 1-line block ×3, first 2 shown]
	v_add_f64_e32 v[12:13], v[12:13], v[14:15]
	v_add_f64_e64 v[14:15], v[132:133], -v[136:137]
	scratch_store_b32 off, v0, off offset:740 ; 4-byte Folded Spill
	v_fma_f64 v[70:71], v[26:27], s[18:19], v[18:19]
	v_fma_f64 v[18:19], v[26:27], s[14:15], v[18:19]
	ds_store_b128 v0, v[99:102] offset:1920
	v_mad_u16 v0, 0x96, v107, v151
	s_delay_alu instid0(VALU_DEP_1) | instskip(NEXT) | instid1(VALU_DEP_1)
	v_and_b32_e32 v0, 0xffff, v0
	v_lshlrev_b32_e32 v0, 4, v0
	v_add_f64_e32 v[14:15], v[14:15], v[16:17]
	v_add_f64_e32 v[16:17], v[134:135], v[138:139]
	v_fma_f64 v[70:71], v[68:69], s[12:13], v[70:71]
	v_fma_f64 v[18:19], v[68:69], s[10:11], v[18:19]
	s_delay_alu instid0(VALU_DEP_3) | instskip(NEXT) | instid1(VALU_DEP_3)
	v_fma_f64 v[16:17], v[16:17], -0.5, v[76:77]
	v_fma_f64 v[126:127], v[14:15], s[20:21], v[70:71]
	s_delay_alu instid0(VALU_DEP_3)
	v_fma_f64 v[130:131], v[14:15], s[20:21], v[18:19]
	v_add_f64_e32 v[18:19], v[78:79], v[132:133]
	v_add_f64_e32 v[14:15], v[132:133], v[145:146]
	v_add_f64_e64 v[70:71], v[136:137], -v[132:133]
	v_fma_f64 v[24:25], v[20:21], s[14:15], v[16:17]
	v_fma_f64 v[16:17], v[20:21], s[18:19], v[16:17]
	v_add_f64_e32 v[18:19], v[18:19], v[136:137]
	v_fma_f64 v[14:15], v[14:15], -0.5, v[78:79]
	s_delay_alu instid0(VALU_DEP_4) | instskip(NEXT) | instid1(VALU_DEP_4)
	v_fma_f64 v[24:25], v[22:23], s[10:11], v[24:25]
	v_fma_f64 v[16:17], v[22:23], s[12:13], v[16:17]
	s_delay_alu instid0(VALU_DEP_4) | instskip(NEXT) | instid1(VALU_DEP_3)
	v_add_f64_e32 v[18:19], v[18:19], v[140:141]
	v_fma_f64 v[124:125], v[12:13], s[20:21], v[24:25]
	s_delay_alu instid0(VALU_DEP_3) | instskip(SKIP_4) | instid1(VALU_DEP_4)
	v_fma_f64 v[128:129], v[12:13], s[20:21], v[16:17]
	v_add_f64_e32 v[16:17], v[76:77], v[89:90]
	v_add_f64_e32 v[12:13], v[89:90], v[142:143]
	v_add_f64_e64 v[24:25], v[134:135], -v[89:90]
	v_add_f64_e32 v[78:79], v[18:19], v[145:146]
	v_add_f64_e32 v[16:17], v[16:17], v[134:135]
	s_delay_alu instid0(VALU_DEP_4) | instskip(NEXT) | instid1(VALU_DEP_4)
	v_fma_f64 v[12:13], v[12:13], -0.5, v[76:77]
	v_add_f64_e32 v[24:25], v[24:25], v[80:81]
	v_add_f64_e64 v[80:81], v[166:167], -v[162:163]
	s_delay_alu instid0(VALU_DEP_4) | instskip(NEXT) | instid1(VALU_DEP_4)
	v_add_f64_e32 v[16:17], v[16:17], v[138:139]
	v_fma_f64 v[18:19], v[22:23], s[18:19], v[12:13]
	v_fma_f64 v[12:13], v[22:23], s[14:15], v[12:13]
	;; [unrolled: 1-line block ×4, first 2 shown]
	v_add_f64_e64 v[68:69], v[149:150], -v[166:167]
	v_add_f64_e32 v[76:77], v[16:17], v[142:143]
	v_add_f64_e64 v[16:17], v[140:141], -v[145:146]
	v_fma_f64 v[12:13], v[20:21], s[12:13], v[12:13]
	v_fma_f64 v[18:19], v[20:21], s[10:11], v[18:19]
	;; [unrolled: 1-line block ×4, first 2 shown]
	v_add_f64_e64 v[26:27], v[158:159], -v[162:163]
	v_add_f64_e64 v[22:23], v[156:157], -v[168:169]
	v_add_f64_e32 v[16:17], v[70:71], v[16:17]
	v_fma_f64 v[136:137], v[24:25], s[20:21], v[12:13]
	v_add_f64_e64 v[12:13], v[158:159], -v[149:150]
	v_fma_f64 v[132:133], v[24:25], s[20:21], v[18:19]
	v_add_f64_e32 v[18:19], v[156:157], v[168:169]
	v_fma_f64 v[138:139], v[16:17], s[20:21], v[14:15]
	v_add_f64_e64 v[14:15], v[162:163], -v[166:167]
	v_fma_f64 v[134:135], v[16:17], s[20:21], v[20:21]
	v_add_f64_e64 v[16:17], v[164:165], -v[168:169]
	v_fma_f64 v[18:19], v[18:19], -0.5, v[93:94]
	v_add_f64_e64 v[20:21], v[160:161], -v[164:165]
	ds_store_b128 v0, v[76:79]
	ds_store_b128 v0, v[124:127] offset:480
	ds_store_b128 v0, v[132:135] offset:960
	;; [unrolled: 1-line block ×3, first 2 shown]
	v_add_f64_e32 v[12:13], v[12:13], v[14:15]
	v_add_f64_e64 v[14:15], v[160:161], -v[156:157]
	scratch_store_b32 off, v0, off offset:736 ; 4-byte Folded Spill
	v_fma_f64 v[70:71], v[26:27], s[14:15], v[18:19]
	v_fma_f64 v[18:19], v[26:27], s[18:19], v[18:19]
	ds_store_b128 v0, v[128:131] offset:1920
	v_mad_u16 v0, 0x96, v82, v170
	s_delay_alu instid0(VALU_DEP_1) | instskip(NEXT) | instid1(VALU_DEP_1)
	v_and_b32_e32 v0, 0xffff, v0
	v_lshlrev_b32_e32 v0, 4, v0
	v_add_f64_e32 v[14:15], v[14:15], v[16:17]
	v_add_f64_e32 v[16:17], v[149:150], v[166:167]
	v_fma_f64 v[70:71], v[68:69], s[12:13], v[70:71]
	v_fma_f64 v[18:19], v[68:69], s[10:11], v[18:19]
	s_delay_alu instid0(VALU_DEP_3) | instskip(NEXT) | instid1(VALU_DEP_3)
	v_fma_f64 v[16:17], v[16:17], -0.5, v[91:92]
	v_fma_f64 v[142:143], v[14:15], s[20:21], v[70:71]
	s_delay_alu instid0(VALU_DEP_3)
	v_fma_f64 v[147:148], v[14:15], s[20:21], v[18:19]
	v_add_f64_e32 v[18:19], v[93:94], v[156:157]
	v_add_f64_e32 v[14:15], v[160:161], v[164:165]
	v_add_f64_e64 v[70:71], v[156:157], -v[160:161]
	v_fma_f64 v[24:25], v[20:21], s[18:19], v[16:17]
	v_fma_f64 v[16:17], v[20:21], s[14:15], v[16:17]
	v_add_f64_e32 v[18:19], v[18:19], v[160:161]
	v_fma_f64 v[14:15], v[14:15], -0.5, v[93:94]
	s_delay_alu instid0(VALU_DEP_4) | instskip(NEXT) | instid1(VALU_DEP_4)
	v_fma_f64 v[24:25], v[22:23], s[10:11], v[24:25]
	v_fma_f64 v[16:17], v[22:23], s[12:13], v[16:17]
	s_delay_alu instid0(VALU_DEP_4) | instskip(NEXT) | instid1(VALU_DEP_3)
	v_add_f64_e32 v[18:19], v[18:19], v[164:165]
	v_fma_f64 v[140:141], v[12:13], s[20:21], v[24:25]
	s_delay_alu instid0(VALU_DEP_3) | instskip(SKIP_3) | instid1(VALU_DEP_3)
	v_fma_f64 v[145:146], v[12:13], s[20:21], v[16:17]
	v_add_f64_e32 v[16:17], v[91:92], v[149:150]
	v_add_f64_e32 v[12:13], v[158:159], v[162:163]
	v_add_f64_e64 v[24:25], v[149:150], -v[158:159]
	v_add_f64_e32 v[16:17], v[16:17], v[158:159]
	s_delay_alu instid0(VALU_DEP_3) | instskip(SKIP_1) | instid1(VALU_DEP_4)
	v_fma_f64 v[12:13], v[12:13], -0.5, v[91:92]
	v_add_f64_e32 v[91:92], v[18:19], v[168:169]
	v_add_f64_e32 v[24:25], v[24:25], v[80:81]
	s_delay_alu instid0(VALU_DEP_4) | instskip(NEXT) | instid1(VALU_DEP_4)
	v_add_f64_e32 v[16:17], v[16:17], v[162:163]
	v_fma_f64 v[18:19], v[22:23], s[14:15], v[12:13]
	v_fma_f64 v[12:13], v[22:23], s[18:19], v[12:13]
	;; [unrolled: 1-line block ×4, first 2 shown]
	v_add_f64_e32 v[89:90], v[16:17], v[166:167]
	v_add_f64_e64 v[16:17], v[168:169], -v[164:165]
	v_fma_f64 v[12:13], v[20:21], s[12:13], v[12:13]
	v_fma_f64 v[18:19], v[20:21], s[10:11], v[18:19]
	;; [unrolled: 1-line block ×4, first 2 shown]
	v_add_f64_e32 v[16:17], v[70:71], v[16:17]
	v_fma_f64 v[68:69], v[24:25], s[20:21], v[12:13]
	v_fma_f64 v[156:157], v[24:25], s[20:21], v[18:19]
	s_delay_alu instid0(VALU_DEP_3)
	v_fma_f64 v[70:71], v[16:17], s[20:21], v[14:15]
	v_fma_f64 v[158:159], v[16:17], s[20:21], v[20:21]
	ds_store_b128 v0, v[89:92]
	ds_store_b128 v0, v[156:159] offset:480
	ds_store_b128 v0, v[140:143] offset:960
	;; [unrolled: 1-line block ×3, first 2 shown]
	scratch_store_b32 off, v0, off offset:732 ; 4-byte Folded Spill
	ds_store_b128 v0, v[68:71] offset:1920
	global_wb scope:SCOPE_SE
	s_wait_storecnt_dscnt 0x0
	s_barrier_signal -1
	s_barrier_wait -1
	global_inv scope:SCOPE_SE
	ds_load_b128 v[96:99], v176 offset:1440
	ds_load_b128 v[100:103], v176 offset:2880
	;; [unrolled: 1-line block ×22, first 2 shown]
	ds_load_b128 v[104:107], v176
	ds_load_b128 v[0:3], v176 offset:34080
	s_and_saveexec_b32 s1, s0
	s_cbranch_execz .LBB0_13
; %bb.12:
	ds_load_b128 v[60:63], v176 offset:23520
	ds_load_b128 v[68:71], v176 offset:11520
	;; [unrolled: 1-line block ×3, first 2 shown]
.LBB0_13:
	s_wait_alu 0xfffe
	s_or_b32 exec_lo, exec_lo, s1
	scratch_load_b32 v22, off, off          ; 4-byte Folded Reload
	s_mov_b32 s10, 0xe8584caa
	s_mov_b32 s11, 0x3febb67a
	;; [unrolled: 1-line block ×3, first 2 shown]
	s_wait_alu 0xfffe
	s_mov_b32 s12, s10
	s_wait_loadcnt 0x0
	v_lshlrev_b32_e32 v6, 5, v22
	s_clause 0x1
	global_load_b128 v[12:15], v6, s[2:3] offset:2240
	global_load_b128 v[16:19], v6, s[2:3] offset:2256
	s_wait_loadcnt_dscnt 0x105
	v_mul_f64_e32 v[4:5], v[142:143], v[14:15]
	scratch_store_b128 off, v[12:15], off offset:612 ; 16-byte Folded Spill
	s_wait_loadcnt 0x0
	scratch_store_b128 off, v[16:19], off offset:628 ; 16-byte Folded Spill
	v_fma_f64 v[149:150], v[140:141], v[12:13], -v[4:5]
	v_mul_f64_e32 v[4:5], v[140:141], v[14:15]
	s_delay_alu instid0(VALU_DEP_1) | instskip(SKIP_2) | instid1(VALU_DEP_1)
	v_fma_f64 v[162:163], v[142:143], v[12:13], v[4:5]
	s_wait_dscnt 0x3
	v_mul_f64_e32 v[4:5], v[138:139], v[18:19]
	v_fma_f64 v[160:161], v[136:137], v[16:17], -v[4:5]
	v_mul_f64_e32 v[4:5], v[136:137], v[18:19]
	s_delay_alu instid0(VALU_DEP_1)
	v_fma_f64 v[164:165], v[138:139], v[16:17], v[4:5]
	s_clause 0x1
	global_load_b128 v[12:15], v6, s[2:3] offset:3200
	global_load_b128 v[16:19], v6, s[2:3] offset:3216
	s_wait_loadcnt 0x1
	v_mul_f64_e32 v[4:5], v[134:135], v[14:15]
	scratch_store_b128 off, v[12:15], off offset:652 ; 16-byte Folded Spill
	s_wait_loadcnt 0x0
	scratch_store_b128 off, v[16:19], off offset:668 ; 16-byte Folded Spill
	v_fma_f64 v[145:146], v[132:133], v[12:13], -v[4:5]
	v_mul_f64_e32 v[4:5], v[132:133], v[14:15]
	s_delay_alu instid0(VALU_DEP_1) | instskip(SKIP_1) | instid1(VALU_DEP_1)
	v_fma_f64 v[156:157], v[134:135], v[12:13], v[4:5]
	v_mul_f64_e32 v[4:5], v[130:131], v[18:19]
	v_fma_f64 v[147:148], v[128:129], v[16:17], -v[4:5]
	v_mul_f64_e32 v[4:5], v[128:129], v[18:19]
	s_delay_alu instid0(VALU_DEP_1)
	v_fma_f64 v[158:159], v[130:131], v[16:17], v[4:5]
	v_add_co_u32 v4, s1, 0xffffffc4, v22
	s_wait_alu 0xf1ff
	v_add_co_ci_u32_e64 v5, null, 0, -1, s1
	v_cmp_gt_u16_e64 s1, 60, v22
	s_wait_alu 0xf1ff
	s_delay_alu instid0(VALU_DEP_1) | instskip(SKIP_1) | instid1(VALU_DEP_1)
	v_cndmask_b32_e64 v129, v5, v144, s1
	v_cndmask_b32_e64 v128, v4, v187, s1
	v_lshlrev_b64_e32 v[4:5], 5, v[128:129]
	s_delay_alu instid0(VALU_DEP_1) | instskip(SKIP_1) | instid1(VALU_DEP_2)
	v_add_co_u32 v4, s1, s2, v4
	s_wait_alu 0xf1ff
	v_add_co_ci_u32_e64 v5, s1, s3, v5, s1
	s_clause 0x1
	global_load_b128 v[12:15], v[4:5], off offset:2240
	global_load_b128 v[16:19], v[4:5], off offset:2256
	s_wait_loadcnt 0x1
	v_mul_f64_e32 v[4:5], v[126:127], v[14:15]
	scratch_store_b128 off, v[12:15], off offset:684 ; 16-byte Folded Spill
	s_wait_loadcnt 0x0
	scratch_store_b128 off, v[16:19], off offset:700 ; 16-byte Folded Spill
	v_fma_f64 v[129:130], v[124:125], v[12:13], -v[4:5]
	v_mul_f64_e32 v[4:5], v[124:125], v[14:15]
	s_delay_alu instid0(VALU_DEP_1) | instskip(SKIP_1) | instid1(VALU_DEP_1)
	v_fma_f64 v[126:127], v[126:127], v[12:13], v[4:5]
	v_mul_f64_e32 v[4:5], v[122:123], v[18:19]
	v_fma_f64 v[124:125], v[120:121], v[16:17], -v[4:5]
	v_mul_f64_e32 v[4:5], v[120:121], v[18:19]
	s_delay_alu instid0(VALU_DEP_1) | instskip(SKIP_1) | instid1(VALU_DEP_1)
	v_fma_f64 v[120:121], v[122:123], v[16:17], v[4:5]
	v_lshrrev_b16 v4, 1, v152
	v_and_b32_e32 v4, 0xffff, v4
	s_delay_alu instid0(VALU_DEP_1) | instskip(NEXT) | instid1(VALU_DEP_1)
	v_mul_u32_u24_e32 v4, 0xda75, v4
	v_lshrrev_b32_e32 v6, 22, v4
	s_delay_alu instid0(VALU_DEP_1) | instskip(NEXT) | instid1(VALU_DEP_1)
	v_mul_lo_u16 v4, 0x96, v6
	v_sub_nc_u16 v7, v152, v4
	s_delay_alu instid0(VALU_DEP_1) | instskip(NEXT) | instid1(VALU_DEP_1)
	v_lshlrev_b16 v4, 5, v7
	v_and_b32_e32 v4, 0xffff, v4
	s_delay_alu instid0(VALU_DEP_1)
	v_add_co_u32 v4, s1, s2, v4
	s_wait_alu 0xf1ff
	v_add_co_ci_u32_e64 v5, null, s3, 0, s1
	s_clause 0x1
	global_load_b128 v[12:15], v[4:5], off offset:2240
	global_load_b128 v[16:19], v[4:5], off offset:2256
	s_wait_loadcnt 0x1
	v_mul_f64_e32 v[4:5], v[34:35], v[14:15]
	scratch_store_b128 off, v[12:15], off offset:944 ; 16-byte Folded Spill
	s_wait_loadcnt 0x0
	scratch_store_b128 off, v[16:19], off offset:960 ; 16-byte Folded Spill
	v_fma_f64 v[122:123], v[32:33], v[12:13], -v[4:5]
	v_mul_f64_e32 v[4:5], v[32:33], v[14:15]
	s_delay_alu instid0(VALU_DEP_1) | instskip(SKIP_1) | instid1(VALU_DEP_1)
	v_fma_f64 v[133:134], v[34:35], v[12:13], v[4:5]
	v_mul_f64_e32 v[4:5], v[30:31], v[18:19]
	v_fma_f64 v[131:132], v[28:29], v[16:17], -v[4:5]
	v_mul_f64_e32 v[4:5], v[28:29], v[18:19]
	s_delay_alu instid0(VALU_DEP_1) | instskip(SKIP_1) | instid1(VALU_DEP_1)
	v_fma_f64 v[135:136], v[30:31], v[16:17], v[4:5]
	v_lshrrev_b16 v4, 1, v154
	v_and_b32_e32 v4, 0xffff, v4
	s_delay_alu instid0(VALU_DEP_1) | instskip(NEXT) | instid1(VALU_DEP_1)
	v_mul_u32_u24_e32 v4, 0xda75, v4
	v_lshrrev_b32_e32 v4, 22, v4
	s_delay_alu instid0(VALU_DEP_1) | instskip(NEXT) | instid1(VALU_DEP_1)
	v_mul_lo_u16 v4, 0x96, v4
	v_sub_nc_u16 v28, v154, v4
	s_delay_alu instid0(VALU_DEP_1) | instskip(NEXT) | instid1(VALU_DEP_1)
	v_lshlrev_b16 v4, 5, v28
	v_and_b32_e32 v4, 0xffff, v4
	s_delay_alu instid0(VALU_DEP_1)
	v_add_co_u32 v4, s1, s2, v4
	s_wait_alu 0xf1ff
	v_add_co_ci_u32_e64 v5, null, s3, 0, s1
	;; [unrolled: 32-line block ×4, first 2 shown]
	s_clause 0x1
	global_load_b128 v[12:15], v[4:5], off offset:2240
	global_load_b128 v[16:19], v[4:5], off offset:2256
	s_wait_loadcnt 0x1
	v_mul_f64_e32 v[4:5], v[58:59], v[14:15]
	scratch_store_b128 off, v[12:15], off offset:1200 ; 16-byte Folded Spill
	s_wait_loadcnt 0x0
	scratch_store_b128 off, v[16:19], off offset:1216 ; 16-byte Folded Spill
	v_fma_f64 v[174:175], v[56:57], v[12:13], -v[4:5]
	v_mul_f64_e32 v[4:5], v[56:57], v[14:15]
	s_delay_alu instid0(VALU_DEP_1) | instskip(SKIP_2) | instid1(VALU_DEP_2)
	v_fma_f64 v[178:179], v[58:59], v[12:13], v[4:5]
	v_mul_f64_e32 v[12:13], v[52:53], v[18:19]
	v_mul_f64_e32 v[4:5], v[54:55], v[18:19]
	v_fma_f64 v[180:181], v[54:55], v[16:17], v[12:13]
	v_lshrrev_b16 v12, 1, v9
	s_delay_alu instid0(VALU_DEP_3) | instskip(NEXT) | instid1(VALU_DEP_2)
	v_fma_f64 v[4:5], v[52:53], v[16:17], -v[4:5]
	v_and_b32_e32 v12, 0xffff, v12
	s_delay_alu instid0(VALU_DEP_1) | instskip(NEXT) | instid1(VALU_DEP_1)
	v_mul_u32_u24_e32 v12, 0xda75, v12
	v_lshrrev_b32_e32 v12, 22, v12
	s_delay_alu instid0(VALU_DEP_1) | instskip(NEXT) | instid1(VALU_DEP_1)
	v_mul_lo_u16 v12, 0x96, v12
	v_sub_nc_u16 v9, v9, v12
	s_delay_alu instid0(VALU_DEP_1) | instskip(NEXT) | instid1(VALU_DEP_1)
	v_lshlrev_b16 v12, 5, v9
	v_and_b32_e32 v12, 0xffff, v12
	s_delay_alu instid0(VALU_DEP_1)
	v_add_co_u32 v12, s1, s2, v12
	s_wait_alu 0xf1ff
	v_add_co_ci_u32_e64 v13, null, s3, 0, s1
	s_clause 0x1
	global_load_b128 v[18:21], v[12:13], off offset:2240
	global_load_b128 v[14:17], v[12:13], off offset:2256
	s_wait_loadcnt_dscnt 0x102
	v_mul_f64_e32 v[12:13], v[118:119], v[20:21]
	scratch_store_b128 off, v[18:21], off offset:1248 ; 16-byte Folded Spill
	s_wait_loadcnt 0x0
	scratch_store_b128 off, v[14:17], off offset:1232 ; 16-byte Folded Spill
	v_fma_f64 v[182:183], v[116:117], v[18:19], -v[12:13]
	v_mul_f64_e32 v[12:13], v[116:117], v[20:21]
	v_add_f64_e64 v[20:21], v[162:163], -v[164:165]
	s_delay_alu instid0(VALU_DEP_2) | instskip(SKIP_2) | instid1(VALU_DEP_1)
	v_fma_f64 v[118:119], v[118:119], v[18:19], v[12:13]
	s_wait_dscnt 0x0
	v_mul_f64_e32 v[12:13], v[2:3], v[16:17]
	v_fma_f64 v[116:117], v[0:1], v[14:15], -v[12:13]
	v_mul_f64_e32 v[0:1], v[0:1], v[16:17]
	s_delay_alu instid0(VALU_DEP_1) | instskip(SKIP_1) | instid1(VALU_DEP_1)
	v_fma_f64 v[184:185], v[2:3], v[14:15], v[0:1]
	v_lshrrev_b16 v0, 1, v8
	v_and_b32_e32 v0, 0xffff, v0
	s_delay_alu instid0(VALU_DEP_1) | instskip(NEXT) | instid1(VALU_DEP_1)
	v_mul_u32_u24_e32 v0, 0xda75, v0
	v_lshrrev_b32_e32 v0, 22, v0
	s_delay_alu instid0(VALU_DEP_1) | instskip(NEXT) | instid1(VALU_DEP_1)
	v_mul_lo_u16 v0, 0x96, v0
	v_sub_nc_u16 v8, v8, v0
	s_delay_alu instid0(VALU_DEP_1) | instskip(NEXT) | instid1(VALU_DEP_1)
	v_lshlrev_b16 v0, 5, v8
	v_and_b32_e32 v0, 0xffff, v0
	s_delay_alu instid0(VALU_DEP_1)
	v_add_co_u32 v0, s1, s2, v0
	s_wait_alu 0xf1ff
	v_add_co_ci_u32_e64 v1, null, s3, 0, s1
	s_clause 0x1
	global_load_b128 v[12:15], v[0:1], off offset:2240
	global_load_b128 v[16:19], v[0:1], off offset:2256
	v_cmp_lt_u16_e64 s1, 59, v22
	s_wait_loadcnt 0x1
	v_mul_f64_e32 v[0:1], v[62:63], v[14:15]
	v_mul_f64_e32 v[2:3], v[60:61], v[14:15]
	scratch_store_b128 off, v[12:15], off offset:1360 ; 16-byte Folded Spill
	s_wait_loadcnt 0x0
	scratch_store_b128 off, v[16:19], off offset:1376 ; 16-byte Folded Spill
	v_add_f64_e32 v[14:15], v[162:163], v[164:165]
	global_wb scope:SCOPE_SE
	s_wait_storecnt 0x0
	s_barrier_signal -1
	s_barrier_wait -1
	global_inv scope:SCOPE_SE
	v_fma_f64 v[0:1], v[60:61], v[12:13], -v[0:1]
	v_fma_f64 v[62:63], v[62:63], v[12:13], v[2:3]
	v_mul_f64_e32 v[2:3], v[66:67], v[18:19]
	v_mul_f64_e32 v[12:13], v[64:65], v[18:19]
	v_fma_f64 v[14:15], v[14:15], -0.5, v[106:107]
	v_add_f64_e32 v[18:19], v[104:105], v[149:150]
	s_delay_alu instid0(VALU_DEP_4) | instskip(NEXT) | instid1(VALU_DEP_4)
	v_fma_f64 v[2:3], v[64:65], v[16:17], -v[2:3]
	v_fma_f64 v[60:61], v[66:67], v[16:17], v[12:13]
	v_add_f64_e32 v[12:13], v[149:150], v[160:161]
	v_add_f64_e32 v[16:17], v[106:107], v[162:163]
	;; [unrolled: 1-line block ×4, first 2 shown]
	s_delay_alu instid0(VALU_DEP_4) | instskip(NEXT) | instid1(VALU_DEP_4)
	v_fma_f64 v[12:13], v[12:13], -0.5, v[104:105]
	v_add_f64_e32 v[66:67], v[16:17], v[164:165]
	v_add_f64_e64 v[16:17], v[149:150], -v[160:161]
	s_delay_alu instid0(VALU_DEP_3) | instskip(SKIP_2) | instid1(VALU_DEP_3)
	v_fma_f64 v[104:105], v[20:21], s[10:11], v[12:13]
	s_wait_alu 0xfffe
	v_fma_f64 v[160:161], v[20:21], s[12:13], v[12:13]
	v_fma_f64 v[106:107], v[16:17], s[12:13], v[14:15]
	;; [unrolled: 1-line block ×3, first 2 shown]
	v_add_f64_e32 v[12:13], v[145:146], v[147:148]
	v_add_f64_e32 v[14:15], v[156:157], v[158:159]
	;; [unrolled: 1-line block ×3, first 2 shown]
	v_add_f64_e64 v[20:21], v[156:157], -v[158:159]
	ds_store_b128 v176, v[64:67]
	ds_store_b128 v176, v[104:107] offset:2400
	ds_store_b128 v176, v[160:163] offset:4800
	v_fma_f64 v[12:13], v[12:13], -0.5, v[100:101]
	v_fma_f64 v[14:15], v[14:15], -0.5, v[102:103]
	v_add_f64_e32 v[102:103], v[16:17], v[158:159]
	v_add_f64_e64 v[16:17], v[145:146], -v[147:148]
	v_add_f64_e32 v[100:101], v[18:19], v[147:148]
	v_add_f64_e32 v[18:19], v[96:97], v[129:130]
	v_fma_f64 v[156:157], v[20:21], s[10:11], v[12:13]
	v_fma_f64 v[188:189], v[20:21], s[12:13], v[12:13]
	v_add_f64_e32 v[12:13], v[129:130], v[124:125]
	v_fma_f64 v[158:159], v[16:17], s[12:13], v[14:15]
	v_fma_f64 v[190:191], v[16:17], s[10:11], v[14:15]
	v_add_f64_e32 v[14:15], v[126:127], v[120:121]
	v_add_f64_e32 v[16:17], v[98:99], v[126:127]
	v_add_f64_e64 v[20:21], v[126:127], -v[120:121]
	v_fma_f64 v[12:13], v[12:13], -0.5, v[96:97]
	v_add_f64_e32 v[96:97], v[18:19], v[124:125]
	v_add_f64_e32 v[18:19], v[92:93], v[122:123]
	v_fma_f64 v[14:15], v[14:15], -0.5, v[98:99]
	v_add_f64_e32 v[98:99], v[16:17], v[120:121]
	v_add_f64_e64 v[16:17], v[129:130], -v[124:125]
	v_fma_f64 v[124:125], v[20:21], s[10:11], v[12:13]
	v_fma_f64 v[192:193], v[20:21], s[12:13], v[12:13]
	v_add_f64_e32 v[12:13], v[122:123], v[131:132]
	v_add_f64_e64 v[20:21], v[133:134], -v[135:136]
	v_add_f64_e32 v[64:65], v[18:19], v[131:132]
	v_fma_f64 v[126:127], v[16:17], s[12:13], v[14:15]
	v_fma_f64 v[194:195], v[16:17], s[10:11], v[14:15]
	v_add_f64_e32 v[14:15], v[133:134], v[135:136]
	v_add_f64_e32 v[16:17], v[94:95], v[133:134]
	;; [unrolled: 1-line block ×3, first 2 shown]
	v_fma_f64 v[12:13], v[12:13], -0.5, v[92:93]
	s_delay_alu instid0(VALU_DEP_4) | instskip(NEXT) | instid1(VALU_DEP_4)
	v_fma_f64 v[14:15], v[14:15], -0.5, v[94:95]
	v_add_f64_e32 v[66:67], v[16:17], v[135:136]
	v_add_f64_e64 v[16:17], v[122:123], -v[131:132]
	s_delay_alu instid0(VALU_DEP_4)
	v_fma_f64 v[92:93], v[20:21], s[10:11], v[12:13]
	v_fma_f64 v[104:105], v[20:21], s[12:13], v[12:13]
	v_add_f64_e32 v[12:13], v[137:138], v[139:140]
	v_add_f64_e64 v[20:21], v[141:142], -v[143:144]
	v_fma_f64 v[94:95], v[16:17], s[12:13], v[14:15]
	v_fma_f64 v[106:107], v[16:17], s[10:11], v[14:15]
	v_add_f64_e32 v[14:15], v[141:142], v[143:144]
	v_add_f64_e32 v[16:17], v[90:91], v[141:142]
	v_fma_f64 v[12:13], v[12:13], -0.5, v[88:89]
	v_add_f64_e32 v[88:89], v[18:19], v[139:140]
	v_add_f64_e32 v[18:19], v[80:81], v[166:167]
	v_fma_f64 v[14:15], v[14:15], -0.5, v[90:91]
	v_add_f64_e32 v[90:91], v[16:17], v[143:144]
	v_add_f64_e64 v[16:17], v[137:138], -v[139:140]
	v_fma_f64 v[120:121], v[20:21], s[10:11], v[12:13]
	v_fma_f64 v[129:130], v[20:21], s[12:13], v[12:13]
	v_add_f64_e32 v[12:13], v[166:167], v[168:169]
	v_add_f64_e64 v[20:21], v[170:171], -v[172:173]
	v_fma_f64 v[122:123], v[16:17], s[12:13], v[14:15]
	v_fma_f64 v[131:132], v[16:17], s[10:11], v[14:15]
	v_add_f64_e32 v[14:15], v[170:171], v[172:173]
	v_add_f64_e32 v[16:17], v[82:83], v[170:171]
	v_fma_f64 v[12:13], v[12:13], -0.5, v[80:81]
	v_add_f64_e32 v[80:81], v[18:19], v[168:169]
	v_add_f64_e32 v[18:19], v[76:77], v[174:175]
	v_fma_f64 v[14:15], v[14:15], -0.5, v[82:83]
	v_add_f64_e32 v[82:83], v[16:17], v[172:173]
	v_add_f64_e64 v[16:17], v[166:167], -v[168:169]
	v_fma_f64 v[133:134], v[20:21], s[10:11], v[12:13]
	v_fma_f64 v[137:138], v[20:21], s[12:13], v[12:13]
	v_add_f64_e32 v[12:13], v[174:175], v[4:5]
	v_add_f64_e64 v[20:21], v[178:179], -v[180:181]
	v_fma_f64 v[135:136], v[16:17], s[12:13], v[14:15]
	v_fma_f64 v[139:140], v[16:17], s[10:11], v[14:15]
	v_add_f64_e32 v[14:15], v[178:179], v[180:181]
	v_add_f64_e32 v[16:17], v[78:79], v[178:179]
	v_fma_f64 v[12:13], v[12:13], -0.5, v[76:77]
	v_add_f64_e32 v[76:77], v[18:19], v[4:5]
	v_add_f64_e64 v[4:5], v[174:175], -v[4:5]
	v_add_f64_e64 v[18:19], v[118:119], -v[184:185]
	v_fma_f64 v[14:15], v[14:15], -0.5, v[78:79]
	v_add_f64_e32 v[78:79], v[16:17], v[180:181]
	v_add_f64_e32 v[16:17], v[72:73], v[182:183]
	v_fma_f64 v[160:161], v[20:21], s[10:11], v[12:13]
	v_fma_f64 v[164:165], v[20:21], s[12:13], v[12:13]
	v_add_f64_e32 v[12:13], v[118:119], v[184:185]
	v_fma_f64 v[162:163], v[4:5], s[12:13], v[14:15]
	v_fma_f64 v[166:167], v[4:5], s[10:11], v[14:15]
	v_add_f64_e32 v[4:5], v[182:183], v[116:117]
	v_add_f64_e32 v[14:15], v[74:75], v[118:119]
	v_fma_f64 v[12:13], v[12:13], -0.5, v[74:75]
	s_delay_alu instid0(VALU_DEP_3) | instskip(NEXT) | instid1(VALU_DEP_3)
	v_fma_f64 v[4:5], v[4:5], -0.5, v[72:73]
	v_add_f64_e32 v[74:75], v[14:15], v[184:185]
	v_add_f64_e32 v[72:73], v[16:17], v[116:117]
	v_add_f64_e64 v[14:15], v[182:183], -v[116:117]
	s_delay_alu instid0(VALU_DEP_4) | instskip(SKIP_2) | instid1(VALU_DEP_4)
	v_fma_f64 v[116:117], v[18:19], s[10:11], v[4:5]
	v_fma_f64 v[168:169], v[18:19], s[12:13], v[4:5]
	v_add_f64_e32 v[4:5], v[0:1], v[2:3]
	v_fma_f64 v[118:119], v[14:15], s[12:13], v[12:13]
	v_fma_f64 v[170:171], v[14:15], s[10:11], v[12:13]
	v_add_f64_e32 v[12:13], v[62:63], v[60:61]
	v_add_f64_e64 v[14:15], v[62:63], -v[60:61]
	v_fma_f64 v[4:5], v[4:5], -0.5, v[68:69]
	s_delay_alu instid0(VALU_DEP_3) | instskip(NEXT) | instid1(VALU_DEP_2)
	v_fma_f64 v[12:13], v[12:13], -0.5, v[70:71]
	v_fma_f64 v[148:149], v[14:15], s[10:11], v[4:5]
	v_fma_f64 v[144:145], v[14:15], s[12:13], v[4:5]
	v_add_f64_e64 v[4:5], v[0:1], -v[2:3]
	s_delay_alu instid0(VALU_DEP_1) | instskip(SKIP_3) | instid1(VALU_DEP_1)
	v_fma_f64 v[150:151], v[4:5], s[12:13], v[12:13]
	v_fma_f64 v[146:147], v[4:5], s[10:11], v[12:13]
	s_wait_alu 0xf1ff
	v_cndmask_b32_e64 v4, 0, 0x1c2, s1
	v_add_lshl_u32 v4, v128, v4, 4
	ds_store_b128 v4, v[96:99]
	ds_store_b128 v4, v[124:127] offset:2400
	scratch_store_b32 off, v4, off offset:1264 ; 4-byte Folded Spill
	ds_store_b128 v4, v[192:195] offset:4800
	ds_store_b128 v176, v[100:103] offset:7680
	;; [unrolled: 1-line block ×4, first 2 shown]
	v_mad_u16 v4, 0x1c2, v6, v7
	s_delay_alu instid0(VALU_DEP_1) | instskip(NEXT) | instid1(VALU_DEP_1)
	v_and_b32_e32 v4, 0xffff, v4
	v_lshlrev_b32_e32 v4, 4, v4
	ds_store_b128 v4, v[64:67]
	ds_store_b128 v4, v[92:95] offset:2400
	scratch_store_b32 off, v4, off offset:1268 ; 4-byte Folded Spill
	ds_store_b128 v4, v[104:107] offset:4800
	v_and_b32_e32 v4, 0xffff, v28
	s_delay_alu instid0(VALU_DEP_1)
	v_lshlrev_b32_e32 v5, 4, v4
	v_and_b32_e32 v4, 0xffff, v11
	ds_store_b128 v5, v[88:91] offset:14400
	ds_store_b128 v5, v[120:123] offset:16800
	v_lshlrev_b32_e32 v4, 4, v4
	scratch_store_b32 off, v5, off offset:1272 ; 4-byte Folded Spill
	ds_store_b128 v5, v[129:132] offset:19200
	ds_store_b128 v4, v[80:83] offset:21600
	;; [unrolled: 1-line block ×3, first 2 shown]
	scratch_store_b32 off, v4, off offset:1276 ; 4-byte Folded Spill
	ds_store_b128 v4, v[137:140] offset:26400
	v_mad_u16 v4, 0x1c2, v29, v10
	s_delay_alu instid0(VALU_DEP_1) | instskip(NEXT) | instid1(VALU_DEP_1)
	v_and_b32_e32 v4, 0xffff, v4
	v_lshlrev_b32_e32 v4, 4, v4
	ds_store_b128 v4, v[76:79]
	ds_store_b128 v4, v[160:163] offset:2400
	scratch_store_b32 off, v4, off offset:1280 ; 4-byte Folded Spill
	ds_store_b128 v4, v[164:167] offset:4800
	v_and_b32_e32 v4, 0xffff, v9
	s_delay_alu instid0(VALU_DEP_1)
	v_lshlrev_b32_e32 v5, 4, v4
	v_and_b32_e32 v4, 0xffff, v8
	ds_store_b128 v5, v[116:119] offset:31200
	s_clause 0x1
	scratch_store_b32 off, v4, off offset:1284
	scratch_store_b32 off, v5, off offset:1288
	ds_store_b128 v5, v[72:75] offset:28800
	ds_store_b128 v5, v[168:171] offset:33600
	s_and_saveexec_b32 s1, s0
	s_cbranch_execz .LBB0_15
; %bb.14:
	v_add_f64_e32 v[0:1], v[68:69], v[0:1]
	v_add_f64_e32 v[4:5], v[70:71], v[62:63]
	s_delay_alu instid0(VALU_DEP_2)
	v_add_f64_e32 v[2:3], v[0:1], v[2:3]
	scratch_load_b32 v0, off, off offset:1284 ; 4-byte Folded Reload
	v_add_f64_e32 v[4:5], v[4:5], v[60:61]
	s_wait_loadcnt 0x0
	v_lshlrev_b32_e32 v0, 4, v0
	ds_store_b128 v0, v[148:151] offset:31200
	ds_store_b128 v0, v[2:5] offset:28800
	;; [unrolled: 1-line block ×3, first 2 shown]
.LBB0_15:
	s_wait_alu 0xfffe
	s_or_b32 exec_lo, exec_lo, s1
	scratch_load_b32 v0, off, off           ; 4-byte Folded Reload
	v_lshlrev_b32_e32 v2, 6, v186
	global_wb scope:SCOPE_SE
	s_wait_storecnt 0x0
	s_wait_loadcnt_dscnt 0x0
	s_barrier_signal -1
	s_barrier_wait -1
	global_inv scope:SCOPE_SE
	s_mov_b32 s12, 0x134454ff
	s_mov_b32 s13, 0x3fee6f0e
	;; [unrolled: 1-line block ×3, first 2 shown]
	s_wait_alu 0xfffe
	s_mov_b32 s14, s12
	s_mov_b32 s11, 0xbfe2cf23
	;; [unrolled: 1-line block ×4, first 2 shown]
	v_lshlrev_b32_e32 v1, 6, v0
	v_lshlrev_b32_e32 v0, 6, v187
	s_clause 0xb
	global_load_b128 v[38:41], v1, s[2:3] offset:7040
	global_load_b128 v[46:49], v0, s[2:3] offset:7040
	;; [unrolled: 1-line block ×12, first 2 shown]
	ds_load_b128 v[124:127], v176 offset:7200
	ds_load_b128 v[120:123], v176 offset:8640
	;; [unrolled: 1-line block ×10, first 2 shown]
	s_wait_loadcnt_dscnt 0xa08
	v_mul_f64_e32 v[16:17], v[122:123], v[48:49]
	v_mul_f64_e32 v[18:19], v[120:121], v[48:49]
	scratch_store_b128 off, v[46:49], off offset:1324 ; 16-byte Folded Spill
	s_wait_loadcnt 0x7
	scratch_store_b128 off, v[50:53], off offset:1340 ; 16-byte Folded Spill
	s_wait_dscnt 0x5
	v_mul_f64_e32 v[32:33], v[2:3], v[52:53]
	v_mul_f64_e32 v[34:35], v[0:1], v[52:53]
	s_wait_loadcnt_dscnt 0x603
	v_mul_f64_e32 v[36:37], v[10:11], v[78:79]
	v_mul_f64_e32 v[24:25], v[106:107], v[30:31]
	;; [unrolled: 1-line block ×5, first 2 shown]
	s_clause 0x1
	scratch_store_b128 off, v[38:41], off offset:1292
	scratch_store_b128 off, v[42:45], off offset:1308
	v_mul_f64_e32 v[22:23], v[116:117], v[44:45]
	v_mul_f64_e32 v[26:27], v[104:105], v[30:31]
	s_wait_loadcnt_dscnt 0x502
	v_mul_f64_e32 v[40:41], v[130:131], v[182:183]
	v_fma_f64 v[16:17], v[120:121], v[46:47], -v[16:17]
	v_fma_f64 v[18:19], v[122:123], v[46:47], v[18:19]
	ds_load_b128 v[120:123], v176 offset:30240
	v_fma_f64 v[32:33], v[0:1], v[50:51], -v[32:33]
	v_fma_f64 v[34:35], v[2:3], v[50:51], v[34:35]
	ds_load_b128 v[0:3], v176 offset:23040
	v_fma_f64 v[36:37], v[8:9], v[76:77], -v[36:37]
	v_fma_f64 v[24:25], v[104:105], v[28:29], -v[24:25]
	;; [unrolled: 1-line block ×3, first 2 shown]
	v_fma_f64 v[14:15], v[126:127], v[38:39], v[14:15]
	v_mul_f64_e32 v[38:39], v[8:9], v[78:79]
	ds_load_b128 v[124:127], v176 offset:28800
	v_fma_f64 v[20:21], v[116:117], v[42:43], -v[20:21]
	v_fma_f64 v[22:23], v[118:119], v[42:43], v[22:23]
	v_mul_f64_e32 v[42:43], v[128:129], v[182:183]
	v_fma_f64 v[40:41], v[128:129], v[180:181], -v[40:41]
	v_fma_f64 v[26:27], v[106:107], v[28:29], v[26:27]
	s_wait_loadcnt_dscnt 0x301
	v_mul_f64_e32 v[48:49], v[2:3], v[98:99]
	v_mul_f64_e32 v[50:51], v[0:1], v[98:99]
	v_add_f64_e64 v[192:193], v[24:25], -v[36:37]
	v_fma_f64 v[38:39], v[10:11], v[76:77], v[38:39]
	ds_load_b128 v[8:11], v176 offset:24480
	s_wait_dscnt 0x1
	v_mul_f64_e32 v[44:45], v[124:125], v[94:95]
	v_mul_f64_e32 v[46:47], v[126:127], v[94:95]
	v_fma_f64 v[42:43], v[130:131], v[180:181], v[42:43]
	v_fma_f64 v[48:49], v[0:1], v[96:97], -v[48:49]
	v_fma_f64 v[50:51], v[2:3], v[96:97], v[50:51]
	s_wait_loadcnt 0x2
	v_mul_f64_e32 v[0:1], v[122:123], v[102:103]
	v_mul_f64_e32 v[2:3], v[120:121], v[102:103]
	v_add_f64_e64 v[188:189], v[26:27], -v[38:39]
	v_fma_f64 v[44:45], v[126:127], v[92:93], v[44:45]
	v_fma_f64 v[46:47], v[124:125], v[92:93], -v[46:47]
	v_fma_f64 v[168:169], v[120:121], v[100:101], -v[0:1]
	v_fma_f64 v[170:171], v[122:123], v[100:101], v[2:3]
	s_wait_loadcnt_dscnt 0x100
	v_mul_f64_e32 v[0:1], v[10:11], v[82:83]
	v_mul_f64_e32 v[2:3], v[8:9], v[82:83]
	v_add_f64_e64 v[190:191], v[12:13], -v[46:47]
	s_delay_alu instid0(VALU_DEP_3) | instskip(NEXT) | instid1(VALU_DEP_3)
	v_fma_f64 v[220:221], v[8:9], v[80:81], -v[0:1]
	v_fma_f64 v[224:225], v[10:11], v[80:81], v[2:3]
	ds_load_b128 v[0:3], v176 offset:31680
	s_wait_loadcnt_dscnt 0x0
	v_mul_f64_e32 v[8:9], v[2:3], v[90:91]
	s_delay_alu instid0(VALU_DEP_1) | instskip(SKIP_1) | instid1(VALU_DEP_1)
	v_fma_f64 v[222:223], v[0:1], v[88:89], -v[8:9]
	v_mul_f64_e32 v[0:1], v[0:1], v[90:91]
	v_fma_f64 v[226:227], v[2:3], v[88:89], v[0:1]
	v_lshlrev_b64_e32 v[0:1], 6, v[152:153]
	s_delay_alu instid0(VALU_DEP_1) | instskip(SKIP_1) | instid1(VALU_DEP_2)
	v_add_co_u32 v104, s1, s2, v0
	s_wait_alu 0xf1ff
	v_add_co_ci_u32_e64 v105, s1, s3, v1, s1
	s_clause 0x1
	global_load_b128 v[140:143], v[104:105], off offset:7040
	global_load_b128 v[116:119], v[104:105], off offset:7056
	ds_load_b128 v[0:3], v176 offset:11520
	ds_load_b128 v[8:11], v176 offset:12960
	s_clause 0x1
	global_load_b128 v[128:131], v[104:105], off offset:7072
	global_load_b128 v[124:127], v[104:105], off offset:7088
	s_wait_loadcnt_dscnt 0x301
	v_mul_f64_e32 v[106:107], v[2:3], v[142:143]
	s_delay_alu instid0(VALU_DEP_1) | instskip(SKIP_1) | instid1(VALU_DEP_1)
	v_fma_f64 v[240:241], v[0:1], v[140:141], -v[106:107]
	v_mul_f64_e32 v[0:1], v[0:1], v[142:143]
	v_fma_f64 v[242:243], v[2:3], v[140:141], v[0:1]
	s_wait_loadcnt 0x2
	v_mul_f64_e32 v[0:1], v[134:135], v[118:119]
	s_delay_alu instid0(VALU_DEP_1) | instskip(SKIP_1) | instid1(VALU_DEP_1)
	v_fma_f64 v[244:245], v[132:133], v[116:117], -v[0:1]
	v_mul_f64_e32 v[0:1], v[132:133], v[118:119]
	v_fma_f64 v[246:247], v[134:135], v[116:117], v[0:1]
	ds_load_b128 v[0:3], v176 offset:25920
	ds_load_b128 v[160:163], v176 offset:27360
	s_wait_loadcnt_dscnt 0x101
	v_mul_f64_e32 v[104:105], v[2:3], v[130:131]
	s_delay_alu instid0(VALU_DEP_1) | instskip(SKIP_1) | instid1(VALU_DEP_1)
	v_fma_f64 v[248:249], v[0:1], v[128:129], -v[104:105]
	v_mul_f64_e32 v[0:1], v[0:1], v[130:131]
	v_fma_f64 v[250:251], v[2:3], v[128:129], v[0:1]
	ds_load_b128 v[0:3], v176 offset:33120
	ds_load_b128 v[164:167], v176 offset:34560
	s_wait_loadcnt_dscnt 0x1
	v_mul_f64_e32 v[104:105], v[2:3], v[126:127]
	s_delay_alu instid0(VALU_DEP_1) | instskip(SKIP_1) | instid1(VALU_DEP_1)
	v_fma_f64 v[252:253], v[0:1], v[124:125], -v[104:105]
	v_mul_f64_e32 v[0:1], v[0:1], v[126:127]
	v_fma_f64 v[254:255], v[2:3], v[124:125], v[0:1]
	v_lshlrev_b64_e32 v[0:1], 6, v[154:155]
	s_delay_alu instid0(VALU_DEP_1) | instskip(SKIP_1) | instid1(VALU_DEP_2)
	v_add_co_u32 v0, s1, s2, v0
	s_wait_alu 0xf1ff
	v_add_co_ci_u32_e64 v1, s1, s3, v1, s1
	s_clause 0x3
	global_load_b128 v[136:139], v[0:1], off offset:7040
	global_load_b128 v[132:135], v[0:1], off offset:7056
	;; [unrolled: 1-line block ×4, first 2 shown]
	s_mov_b32 s2, 0x4755a5e
	s_mov_b32 s3, 0x3fe2cf23
	s_wait_alu 0xfffe
	s_mov_b32 s10, s2
	s_wait_loadcnt 0x3
	v_mul_f64_e32 v[2:3], v[10:11], v[138:139]
	s_wait_loadcnt 0x1
	v_mul_f64_e32 v[0:1], v[162:163], v[122:123]
	s_delay_alu instid0(VALU_DEP_2) | instskip(SKIP_1) | instid1(VALU_DEP_3)
	v_fma_f64 v[178:179], v[8:9], v[136:137], -v[2:3]
	v_mul_f64_e32 v[2:3], v[8:9], v[138:139]
	v_fma_f64 v[58:59], v[160:161], v[120:121], -v[0:1]
	v_mul_f64_e32 v[0:1], v[160:161], v[122:123]
	s_delay_alu instid0(VALU_DEP_3) | instskip(SKIP_1) | instid1(VALU_DEP_3)
	v_fma_f64 v[52:53], v[10:11], v[136:137], v[2:3]
	v_mul_f64_e32 v[2:3], v[158:159], v[134:135]
	v_fma_f64 v[160:161], v[162:163], v[120:121], v[0:1]
	s_wait_loadcnt_dscnt 0x0
	v_mul_f64_e32 v[0:1], v[166:167], v[106:107]
	s_delay_alu instid0(VALU_DEP_3) | instskip(SKIP_1) | instid1(VALU_DEP_3)
	v_fma_f64 v[54:55], v[156:157], v[132:133], -v[2:3]
	v_mul_f64_e32 v[2:3], v[156:157], v[134:135]
	v_fma_f64 v[162:163], v[164:165], v[104:105], -v[0:1]
	v_mul_f64_e32 v[0:1], v[164:165], v[106:107]
	v_add_f64_e32 v[156:157], v[24:25], v[36:37]
	s_delay_alu instid0(VALU_DEP_4) | instskip(SKIP_1) | instid1(VALU_DEP_4)
	v_fma_f64 v[56:57], v[158:159], v[132:133], v[2:3]
	v_add_f64_e64 v[2:3], v[46:47], -v[36:37]
	v_fma_f64 v[164:165], v[166:167], v[104:105], v[0:1]
	v_add_f64_e64 v[0:1], v[12:13], -v[24:25]
	v_add_f64_e32 v[158:159], v[26:27], v[38:39]
	v_add_f64_e64 v[166:167], v[14:15], -v[44:45]
	s_delay_alu instid0(VALU_DEP_3) | instskip(SKIP_2) | instid1(VALU_DEP_1)
	v_add_f64_e32 v[152:153], v[0:1], v[2:3]
	v_add_f64_e64 v[0:1], v[14:15], -v[26:27]
	v_add_f64_e64 v[2:3], v[44:45], -v[38:39]
	v_add_f64_e32 v[154:155], v[0:1], v[2:3]
	ds_load_b128 v[0:3], v176
	ds_load_b128 v[8:11], v176 offset:1440
	s_wait_dscnt 0x1
	v_fma_f64 v[156:157], v[156:157], -0.5, v[0:1]
	v_fma_f64 v[158:159], v[158:159], -0.5, v[2:3]
	s_delay_alu instid0(VALU_DEP_2) | instskip(NEXT) | instid1(VALU_DEP_2)
	v_fma_f64 v[172:173], v[166:167], s[12:13], v[156:157]
	v_fma_f64 v[174:175], v[190:191], s[14:15], v[158:159]
	;; [unrolled: 1-line block ×4, first 2 shown]
	s_delay_alu instid0(VALU_DEP_4) | instskip(SKIP_1) | instid1(VALU_DEP_4)
	v_fma_f64 v[172:173], v[188:189], s[2:3], v[172:173]
	s_wait_alu 0xfffe
	v_fma_f64 v[174:175], v[192:193], s[10:11], v[174:175]
	s_delay_alu instid0(VALU_DEP_4) | instskip(NEXT) | instid1(VALU_DEP_4)
	v_fma_f64 v[156:157], v[188:189], s[10:11], v[156:157]
	v_fma_f64 v[158:159], v[192:193], s[2:3], v[158:159]
	s_delay_alu instid0(VALU_DEP_4) | instskip(NEXT) | instid1(VALU_DEP_4)
	v_fma_f64 v[172:173], v[152:153], s[18:19], v[172:173]
	v_fma_f64 v[174:175], v[154:155], s[18:19], v[174:175]
	s_delay_alu instid0(VALU_DEP_4) | instskip(NEXT) | instid1(VALU_DEP_4)
	v_fma_f64 v[184:185], v[152:153], s[18:19], v[156:157]
	v_fma_f64 v[186:187], v[154:155], s[18:19], v[158:159]
	v_add_f64_e32 v[152:153], v[12:13], v[46:47]
	v_add_f64_e32 v[154:155], v[14:15], v[44:45]
	s_delay_alu instid0(VALU_DEP_2) | instskip(NEXT) | instid1(VALU_DEP_2)
	v_fma_f64 v[152:153], v[152:153], -0.5, v[0:1]
	v_fma_f64 v[154:155], v[154:155], -0.5, v[2:3]
	v_add_f64_e32 v[0:1], v[0:1], v[12:13]
	v_add_f64_e32 v[2:3], v[2:3], v[14:15]
	v_add_f64_e64 v[12:13], v[24:25], -v[12:13]
	v_add_f64_e64 v[14:15], v[26:27], -v[14:15]
	s_delay_alu instid0(VALU_DEP_4) | instskip(NEXT) | instid1(VALU_DEP_4)
	v_add_f64_e32 v[0:1], v[0:1], v[24:25]
	v_add_f64_e32 v[2:3], v[2:3], v[26:27]
	v_add_f64_e64 v[24:25], v[36:37], -v[46:47]
	v_add_f64_e64 v[26:27], v[38:39], -v[44:45]
	s_delay_alu instid0(VALU_DEP_4) | instskip(NEXT) | instid1(VALU_DEP_4)
	v_add_f64_e32 v[0:1], v[0:1], v[36:37]
	v_add_f64_e32 v[2:3], v[2:3], v[38:39]
	v_fma_f64 v[36:37], v[188:189], s[14:15], v[152:153]
	v_fma_f64 v[38:39], v[188:189], s[12:13], v[152:153]
	v_add_f64_e32 v[12:13], v[12:13], v[24:25]
	v_add_f64_e32 v[14:15], v[14:15], v[26:27]
	v_add_f64_e64 v[152:153], v[32:33], -v[48:49]
	v_add_f64_e32 v[0:1], v[0:1], v[46:47]
	v_add_f64_e32 v[2:3], v[2:3], v[44:45]
	v_fma_f64 v[44:45], v[192:193], s[12:13], v[154:155]
	v_fma_f64 v[46:47], v[192:193], s[14:15], v[154:155]
	;; [unrolled: 1-line block ×4, first 2 shown]
	s_delay_alu instid0(VALU_DEP_4) | instskip(NEXT) | instid1(VALU_DEP_4)
	v_fma_f64 v[36:37], v[190:191], s[10:11], v[44:45]
	v_fma_f64 v[38:39], v[190:191], s[2:3], v[46:47]
	s_delay_alu instid0(VALU_DEP_4) | instskip(NEXT) | instid1(VALU_DEP_4)
	v_fma_f64 v[188:189], v[12:13], s[18:19], v[24:25]
	v_fma_f64 v[192:193], v[12:13], s[18:19], v[26:27]
	v_add_f64_e64 v[12:13], v[16:17], -v[32:33]
	v_add_f64_e64 v[24:25], v[170:171], -v[50:51]
	v_add_f64_e32 v[26:27], v[34:35], v[50:51]
	v_add_f64_e64 v[46:47], v[16:17], -v[168:169]
	v_fma_f64 v[190:191], v[14:15], s[18:19], v[36:37]
	v_fma_f64 v[194:195], v[14:15], s[18:19], v[38:39]
	v_add_f64_e64 v[14:15], v[168:169], -v[48:49]
	v_add_f64_e64 v[36:37], v[18:19], -v[170:171]
	;; [unrolled: 1-line block ×3, first 2 shown]
	s_wait_dscnt 0x0
	v_fma_f64 v[26:27], v[26:27], -0.5, v[10:11]
	s_delay_alu instid0(VALU_DEP_4) | instskip(SKIP_1) | instid1(VALU_DEP_3)
	v_add_f64_e32 v[12:13], v[12:13], v[14:15]
	v_add_f64_e64 v[14:15], v[18:19], -v[34:35]
	v_fma_f64 v[154:155], v[46:47], s[14:15], v[26:27]
	v_fma_f64 v[26:27], v[46:47], s[12:13], v[26:27]
	s_delay_alu instid0(VALU_DEP_3) | instskip(SKIP_1) | instid1(VALU_DEP_4)
	v_add_f64_e32 v[14:15], v[14:15], v[24:25]
	v_add_f64_e32 v[24:25], v[32:33], v[48:49]
	v_fma_f64 v[154:155], v[152:153], s[10:11], v[154:155]
	s_delay_alu instid0(VALU_DEP_4) | instskip(NEXT) | instid1(VALU_DEP_3)
	v_fma_f64 v[26:27], v[152:153], s[2:3], v[26:27]
	v_fma_f64 v[24:25], v[24:25], -0.5, v[8:9]
	s_delay_alu instid0(VALU_DEP_3) | instskip(NEXT) | instid1(VALU_DEP_3)
	v_fma_f64 v[198:199], v[14:15], s[18:19], v[154:155]
	v_fma_f64 v[202:203], v[14:15], s[18:19], v[26:27]
	v_add_f64_e32 v[14:15], v[18:19], v[170:171]
	v_add_f64_e64 v[26:27], v[50:51], -v[170:171]
	v_fma_f64 v[44:45], v[36:37], s[12:13], v[24:25]
	v_fma_f64 v[24:25], v[36:37], s[14:15], v[24:25]
	s_delay_alu instid0(VALU_DEP_4) | instskip(SKIP_4) | instid1(VALU_DEP_4)
	v_fma_f64 v[14:15], v[14:15], -0.5, v[10:11]
	v_add_f64_e32 v[10:11], v[10:11], v[18:19]
	v_add_f64_e64 v[18:19], v[34:35], -v[18:19]
	v_fma_f64 v[44:45], v[38:39], s[2:3], v[44:45]
	v_fma_f64 v[24:25], v[38:39], s[10:11], v[24:25]
	v_add_f64_e32 v[10:11], v[10:11], v[34:35]
	v_fma_f64 v[34:35], v[152:153], s[12:13], v[14:15]
	v_fma_f64 v[14:15], v[152:153], s[14:15], v[14:15]
	v_add_f64_e32 v[18:19], v[18:19], v[26:27]
	ds_load_b128 v[152:155], v176 offset:2880
	ds_load_b128 v[156:159], v176 offset:4320
	v_fma_f64 v[196:197], v[12:13], s[18:19], v[44:45]
	v_fma_f64 v[200:201], v[12:13], s[18:19], v[24:25]
	v_add_f64_e32 v[12:13], v[16:17], v[168:169]
	v_add_f64_e64 v[24:25], v[48:49], -v[168:169]
	v_add_f64_e32 v[10:11], v[10:11], v[50:51]
	v_fma_f64 v[26:27], v[46:47], s[10:11], v[34:35]
	v_fma_f64 v[14:15], v[46:47], s[2:3], v[14:15]
	v_add_f64_e64 v[34:35], v[20:21], -v[222:223]
	v_fma_f64 v[12:13], v[12:13], -0.5, v[8:9]
	v_add_f64_e32 v[8:9], v[8:9], v[16:17]
	v_add_f64_e64 v[16:17], v[32:33], -v[16:17]
	v_add_f64_e32 v[10:11], v[10:11], v[170:171]
	v_fma_f64 v[206:207], v[18:19], s[18:19], v[26:27]
	v_fma_f64 v[210:211], v[18:19], s[18:19], v[14:15]
	v_add_f64_e64 v[14:15], v[222:223], -v[220:221]
	v_add_f64_e32 v[18:19], v[42:43], v[224:225]
	v_add_f64_e64 v[26:27], v[42:43], -v[224:225]
	v_add_f64_e32 v[8:9], v[8:9], v[32:33]
	v_fma_f64 v[32:33], v[38:39], s[14:15], v[12:13]
	v_fma_f64 v[12:13], v[38:39], s[12:13], v[12:13]
	v_add_f64_e32 v[16:17], v[16:17], v[24:25]
	s_wait_dscnt 0x1
	v_fma_f64 v[18:19], v[18:19], -0.5, v[154:155]
	v_add_f64_e32 v[8:9], v[8:9], v[48:49]
	v_fma_f64 v[24:25], v[36:37], s[2:3], v[32:33]
	v_fma_f64 v[12:13], v[36:37], s[10:11], v[12:13]
	v_add_f64_e64 v[36:37], v[40:41], -v[220:221]
	v_fma_f64 v[38:39], v[34:35], s[14:15], v[18:19]
	v_fma_f64 v[18:19], v[34:35], s[12:13], v[18:19]
	v_add_f64_e32 v[8:9], v[8:9], v[168:169]
	v_fma_f64 v[204:205], v[16:17], s[18:19], v[24:25]
	v_fma_f64 v[208:209], v[16:17], s[18:19], v[12:13]
	v_add_f64_e64 v[12:13], v[20:21], -v[40:41]
	v_add_f64_e64 v[16:17], v[226:227], -v[224:225]
	v_add_f64_e64 v[24:25], v[22:23], -v[226:227]
	v_fma_f64 v[38:39], v[36:37], s[10:11], v[38:39]
	v_fma_f64 v[18:19], v[36:37], s[2:3], v[18:19]
	v_add_f64_e32 v[12:13], v[12:13], v[14:15]
	v_add_f64_e64 v[14:15], v[22:23], -v[42:43]
	s_delay_alu instid0(VALU_DEP_1) | instskip(SKIP_1) | instid1(VALU_DEP_2)
	v_add_f64_e32 v[14:15], v[14:15], v[16:17]
	v_add_f64_e32 v[16:17], v[40:41], v[220:221]
	v_fma_f64 v[218:219], v[14:15], s[18:19], v[18:19]
	s_delay_alu instid0(VALU_DEP_2)
	v_fma_f64 v[16:17], v[16:17], -0.5, v[152:153]
	v_add_f64_e32 v[18:19], v[154:155], v[22:23]
	v_fma_f64 v[214:215], v[14:15], s[18:19], v[38:39]
	v_add_f64_e32 v[14:15], v[22:23], v[226:227]
	v_add_f64_e64 v[22:23], v[42:43], -v[22:23]
	v_fma_f64 v[32:33], v[24:25], s[12:13], v[16:17]
	v_fma_f64 v[16:17], v[24:25], s[14:15], v[16:17]
	v_add_f64_e32 v[18:19], v[18:19], v[42:43]
	v_fma_f64 v[14:15], v[14:15], -0.5, v[154:155]
	s_delay_alu instid0(VALU_DEP_4) | instskip(NEXT) | instid1(VALU_DEP_4)
	v_fma_f64 v[32:33], v[26:27], s[2:3], v[32:33]
	v_fma_f64 v[16:17], v[26:27], s[10:11], v[16:17]
	s_delay_alu instid0(VALU_DEP_4) | instskip(NEXT) | instid1(VALU_DEP_3)
	v_add_f64_e32 v[18:19], v[18:19], v[224:225]
	v_fma_f64 v[212:213], v[12:13], s[18:19], v[32:33]
	s_delay_alu instid0(VALU_DEP_3) | instskip(SKIP_4) | instid1(VALU_DEP_4)
	v_fma_f64 v[216:217], v[12:13], s[18:19], v[16:17]
	v_add_f64_e32 v[16:17], v[152:153], v[20:21]
	v_add_f64_e32 v[12:13], v[20:21], v[222:223]
	v_add_f64_e64 v[20:21], v[40:41], -v[20:21]
	v_add_f64_e64 v[32:33], v[220:221], -v[222:223]
	v_add_f64_e32 v[16:17], v[16:17], v[40:41]
	s_delay_alu instid0(VALU_DEP_4) | instskip(NEXT) | instid1(VALU_DEP_3)
	v_fma_f64 v[12:13], v[12:13], -0.5, v[152:153]
	v_add_f64_e32 v[20:21], v[20:21], v[32:33]
	v_add_f64_e64 v[32:33], v[244:245], -v[248:249]
	s_delay_alu instid0(VALU_DEP_4) | instskip(NEXT) | instid1(VALU_DEP_1)
	v_add_f64_e32 v[16:17], v[16:17], v[220:221]
	v_add_f64_e32 v[220:221], v[16:17], v[222:223]
	;; [unrolled: 1-line block ×3, first 2 shown]
	v_add_f64_e64 v[16:17], v[224:225], -v[226:227]
	v_fma_f64 v[18:19], v[26:27], s[14:15], v[12:13]
	v_fma_f64 v[12:13], v[26:27], s[12:13], v[12:13]
	;; [unrolled: 1-line block ×4, first 2 shown]
	v_add_f64_e64 v[36:37], v[248:249], -v[252:253]
	v_add_f64_e32 v[16:17], v[22:23], v[16:17]
	v_fma_f64 v[18:19], v[24:25], s[2:3], v[18:19]
	v_fma_f64 v[12:13], v[24:25], s[10:11], v[12:13]
	;; [unrolled: 1-line block ×4, first 2 shown]
	v_add_f64_e64 v[26:27], v[240:241], -v[252:253]
	v_fma_f64 v[224:225], v[20:21], s[18:19], v[18:19]
	v_fma_f64 v[228:229], v[20:21], s[18:19], v[12:13]
	v_add_f64_e64 v[12:13], v[240:241], -v[244:245]
	v_fma_f64 v[230:231], v[16:17], s[18:19], v[14:15]
	v_add_f64_e64 v[14:15], v[252:253], -v[248:249]
	;; [unrolled: 2-line block ×3, first 2 shown]
	v_add_f64_e32 v[18:19], v[246:247], v[250:251]
	v_add_f64_e64 v[20:21], v[242:243], -v[254:255]
	v_add_f64_e64 v[22:23], v[246:247], -v[250:251]
	v_add_f64_e32 v[12:13], v[12:13], v[14:15]
	v_add_f64_e64 v[14:15], v[242:243], -v[246:247]
	s_wait_dscnt 0x0
	v_fma_f64 v[18:19], v[18:19], -0.5, v[158:159]
	s_delay_alu instid0(VALU_DEP_2) | instskip(SKIP_1) | instid1(VALU_DEP_3)
	v_add_f64_e32 v[14:15], v[14:15], v[16:17]
	v_add_f64_e32 v[16:17], v[244:245], v[248:249]
	v_fma_f64 v[34:35], v[26:27], s[14:15], v[18:19]
	v_fma_f64 v[18:19], v[26:27], s[12:13], v[18:19]
	s_delay_alu instid0(VALU_DEP_3) | instskip(NEXT) | instid1(VALU_DEP_3)
	v_fma_f64 v[16:17], v[16:17], -0.5, v[156:157]
	v_fma_f64 v[34:35], v[32:33], s[10:11], v[34:35]
	s_delay_alu instid0(VALU_DEP_3) | instskip(NEXT) | instid1(VALU_DEP_3)
	v_fma_f64 v[18:19], v[32:33], s[2:3], v[18:19]
	v_fma_f64 v[24:25], v[20:21], s[12:13], v[16:17]
	;; [unrolled: 1-line block ×3, first 2 shown]
	s_delay_alu instid0(VALU_DEP_3)
	v_fma_f64 v[238:239], v[14:15], s[18:19], v[18:19]
	v_add_f64_e32 v[18:19], v[158:159], v[242:243]
	v_fma_f64 v[234:235], v[14:15], s[18:19], v[34:35]
	v_add_f64_e32 v[14:15], v[242:243], v[254:255]
	v_add_f64_e64 v[34:35], v[246:247], -v[242:243]
	v_fma_f64 v[24:25], v[22:23], s[2:3], v[24:25]
	v_fma_f64 v[16:17], v[22:23], s[10:11], v[16:17]
	v_add_f64_e32 v[18:19], v[18:19], v[246:247]
	v_fma_f64 v[14:15], v[14:15], -0.5, v[158:159]
	s_delay_alu instid0(VALU_DEP_4) | instskip(NEXT) | instid1(VALU_DEP_4)
	v_fma_f64 v[232:233], v[12:13], s[18:19], v[24:25]
	v_fma_f64 v[236:237], v[12:13], s[18:19], v[16:17]
	v_add_f64_e32 v[16:17], v[156:157], v[240:241]
	v_add_f64_e32 v[12:13], v[240:241], v[252:253]
	;; [unrolled: 1-line block ×3, first 2 shown]
	v_add_f64_e64 v[24:25], v[244:245], -v[240:241]
	s_delay_alu instid0(VALU_DEP_4) | instskip(NEXT) | instid1(VALU_DEP_4)
	v_add_f64_e32 v[16:17], v[16:17], v[244:245]
	v_fma_f64 v[12:13], v[12:13], -0.5, v[156:157]
	s_delay_alu instid0(VALU_DEP_4) | instskip(NEXT) | instid1(VALU_DEP_4)
	v_add_f64_e32 v[242:243], v[18:19], v[254:255]
	v_add_f64_e32 v[24:25], v[24:25], v[36:37]
	s_delay_alu instid0(VALU_DEP_4) | instskip(NEXT) | instid1(VALU_DEP_4)
	v_add_f64_e32 v[16:17], v[16:17], v[248:249]
	v_fma_f64 v[18:19], v[22:23], s[14:15], v[12:13]
	v_fma_f64 v[12:13], v[22:23], s[12:13], v[12:13]
	;; [unrolled: 1-line block ×4, first 2 shown]
	v_add_f64_e64 v[32:33], v[178:179], -v[162:163]
	v_add_f64_e32 v[240:241], v[16:17], v[252:253]
	v_add_f64_e64 v[16:17], v[250:251], -v[254:255]
	v_fma_f64 v[12:13], v[20:21], s[10:11], v[12:13]
	v_fma_f64 v[18:19], v[20:21], s[2:3], v[18:19]
	v_fma_f64 v[14:15], v[26:27], s[2:3], v[14:15]
	v_fma_f64 v[20:21], v[26:27], s[10:11], v[22:23]
	v_add_f64_e64 v[26:27], v[54:55], -v[58:59]
	v_add_f64_e64 v[22:23], v[52:53], -v[164:165]
	v_add_f64_e32 v[16:17], v[34:35], v[16:17]
	v_fma_f64 v[248:249], v[24:25], s[18:19], v[12:13]
	v_add_f64_e64 v[12:13], v[54:55], -v[178:179]
	v_fma_f64 v[244:245], v[24:25], s[18:19], v[18:19]
	v_add_f64_e32 v[18:19], v[52:53], v[164:165]
	v_fma_f64 v[250:251], v[16:17], s[18:19], v[14:15]
	v_add_f64_e64 v[14:15], v[58:59], -v[162:163]
	v_fma_f64 v[246:247], v[16:17], s[18:19], v[20:21]
	v_add_f64_e64 v[16:17], v[160:161], -v[164:165]
	v_fma_f64 v[18:19], v[18:19], -0.5, v[6:7]
	v_add_f64_e64 v[20:21], v[56:57], -v[160:161]
	v_add_f64_e32 v[12:13], v[12:13], v[14:15]
	v_add_f64_e64 v[14:15], v[56:57], -v[52:53]
	s_delay_alu instid0(VALU_DEP_4) | instskip(SKIP_1) | instid1(VALU_DEP_3)
	v_fma_f64 v[34:35], v[26:27], s[12:13], v[18:19]
	v_fma_f64 v[18:19], v[26:27], s[14:15], v[18:19]
	v_add_f64_e32 v[14:15], v[14:15], v[16:17]
	v_add_f64_e32 v[16:17], v[178:179], v[162:163]
	s_delay_alu instid0(VALU_DEP_4) | instskip(NEXT) | instid1(VALU_DEP_4)
	v_fma_f64 v[34:35], v[32:33], s[10:11], v[34:35]
	v_fma_f64 v[18:19], v[32:33], s[2:3], v[18:19]
	s_delay_alu instid0(VALU_DEP_3) | instskip(NEXT) | instid1(VALU_DEP_3)
	v_fma_f64 v[16:17], v[16:17], -0.5, v[4:5]
	v_fma_f64 v[154:155], v[14:15], s[18:19], v[34:35]
	s_delay_alu instid0(VALU_DEP_3) | instskip(SKIP_4) | instid1(VALU_DEP_4)
	v_fma_f64 v[158:159], v[14:15], s[18:19], v[18:19]
	v_add_f64_e32 v[14:15], v[56:57], v[160:161]
	v_add_f64_e64 v[18:19], v[52:53], -v[56:57]
	v_fma_f64 v[24:25], v[20:21], s[14:15], v[16:17]
	v_fma_f64 v[16:17], v[20:21], s[12:13], v[16:17]
	v_fma_f64 v[14:15], v[14:15], -0.5, v[6:7]
	v_add_f64_e32 v[6:7], v[6:7], v[52:53]
	s_delay_alu instid0(VALU_DEP_4) | instskip(NEXT) | instid1(VALU_DEP_4)
	v_fma_f64 v[24:25], v[22:23], s[2:3], v[24:25]
	v_fma_f64 v[16:17], v[22:23], s[10:11], v[16:17]
	s_delay_alu instid0(VALU_DEP_3) | instskip(NEXT) | instid1(VALU_DEP_3)
	v_add_f64_e32 v[6:7], v[6:7], v[56:57]
	v_fma_f64 v[152:153], v[12:13], s[18:19], v[24:25]
	s_delay_alu instid0(VALU_DEP_3) | instskip(SKIP_4) | instid1(VALU_DEP_4)
	v_fma_f64 v[156:157], v[12:13], s[18:19], v[16:17]
	v_add_f64_e32 v[12:13], v[54:55], v[58:59]
	v_add_f64_e64 v[16:17], v[178:179], -v[54:55]
	v_add_f64_e32 v[6:7], v[6:7], v[160:161]
	v_add_f64_e64 v[24:25], v[162:163], -v[58:59]
	v_fma_f64 v[12:13], v[12:13], -0.5, v[4:5]
	v_add_f64_e32 v[4:5], v[4:5], v[178:179]
	s_delay_alu instid0(VALU_DEP_4) | instskip(NEXT) | instid1(VALU_DEP_4)
	v_add_f64_e32 v[170:171], v[6:7], v[164:165]
	v_add_f64_e32 v[16:17], v[16:17], v[24:25]
	s_delay_alu instid0(VALU_DEP_4) | instskip(NEXT) | instid1(VALU_DEP_4)
	v_fma_f64 v[6:7], v[22:23], s[12:13], v[12:13]
	v_add_f64_e32 v[4:5], v[4:5], v[54:55]
	v_fma_f64 v[12:13], v[22:23], s[14:15], v[12:13]
	v_fma_f64 v[22:23], v[32:33], s[14:15], v[14:15]
	;; [unrolled: 1-line block ×4, first 2 shown]
	v_add_f64_e32 v[4:5], v[4:5], v[58:59]
	v_fma_f64 v[12:13], v[20:21], s[10:11], v[12:13]
	s_delay_alu instid0(VALU_DEP_4) | instskip(SKIP_1) | instid1(VALU_DEP_3)
	v_fma_f64 v[14:15], v[26:27], s[2:3], v[14:15]
	s_add_nc_u64 s[2:3], s[16:17], 0x8ca0
	v_add_f64_e32 v[168:169], v[4:5], v[162:163]
	v_add_f64_e64 v[4:5], v[164:165], -v[160:161]
	v_fma_f64 v[160:161], v[16:17], s[18:19], v[6:7]
	v_fma_f64 v[164:165], v[16:17], s[18:19], v[12:13]
	s_delay_alu instid0(VALU_DEP_3) | instskip(SKIP_1) | instid1(VALU_DEP_2)
	v_add_f64_e32 v[4:5], v[18:19], v[4:5]
	v_fma_f64 v[18:19], v[26:27], s[10:11], v[22:23]
	v_fma_f64 v[166:167], v[4:5], s[18:19], v[14:15]
	s_delay_alu instid0(VALU_DEP_2)
	v_fma_f64 v[162:163], v[4:5], s[18:19], v[18:19]
	ds_store_b128 v176, v[0:3]
	ds_store_b128 v176, v[8:11] offset:1440
	ds_store_b128 v176, v[220:223] offset:2880
	;; [unrolled: 1-line block ×24, first 2 shown]
	global_wb scope:SCOPE_SE
	s_wait_storecnt_dscnt 0x0
	s_barrier_signal -1
	s_barrier_wait -1
	global_inv scope:SCOPE_SE
	scratch_load_b64 v[0:1], off, off offset:4 ; 8-byte Folded Reload
	s_wait_loadcnt 0x0
	global_load_b128 v[0:3], v[0:1], off offset:36000
	ds_load_b128 v[4:7], v176
	ds_load_b128 v[8:11], v176 offset:33840
	s_clause 0x1
	global_load_b128 v[172:175], v176, s[2:3] offset:3600
	global_load_b128 v[188:191], v176, s[2:3] offset:1440
	ds_load_b128 v[184:187], v176 offset:3600
	ds_load_b128 v[192:195], v176 offset:1440
	;; [unrolled: 1-line block ×17, first 2 shown]
	s_clause 0x7
	global_load_b128 v[200:203], v176, s[2:3] offset:5040
	global_load_b128 v[212:215], v176, s[2:3] offset:8640
	;; [unrolled: 1-line block ×8, first 2 shown]
	s_wait_loadcnt_dscnt 0xa12
	v_mul_f64_e32 v[12:13], v[6:7], v[2:3]
	v_mul_f64_e32 v[14:15], v[4:5], v[2:3]
	s_delay_alu instid0(VALU_DEP_2) | instskip(NEXT) | instid1(VALU_DEP_2)
	v_fma_f64 v[2:3], v[4:5], v[0:1], -v[12:13]
	v_fma_f64 v[4:5], v[6:7], v[0:1], v[14:15]
	s_wait_loadcnt_dscnt 0x910
	v_mul_f64_e32 v[0:1], v[186:187], v[174:175]
	v_mul_f64_e32 v[6:7], v[184:185], v[174:175]
	ds_load_b128 v[12:15], v176 offset:25200
	v_fma_f64 v[184:185], v[184:185], v[172:173], -v[0:1]
	v_fma_f64 v[186:187], v[186:187], v[172:173], v[6:7]
	global_load_b128 v[172:175], v176, s[2:3] offset:7200
	s_wait_loadcnt_dscnt 0xf
	v_mul_f64_e32 v[0:1], v[198:199], v[174:175]
	v_mul_f64_e32 v[6:7], v[196:197], v[174:175]
	s_delay_alu instid0(VALU_DEP_2) | instskip(NEXT) | instid1(VALU_DEP_2)
	v_fma_f64 v[196:197], v[196:197], v[172:173], -v[0:1]
	v_fma_f64 v[198:199], v[198:199], v[172:173], v[6:7]
	global_load_b128 v[172:175], v176, s[2:3] offset:10800
	s_wait_loadcnt_dscnt 0xd
	v_mul_f64_e32 v[0:1], v[210:211], v[174:175]
	v_mul_f64_e32 v[6:7], v[208:209], v[174:175]
	s_delay_alu instid0(VALU_DEP_2) | instskip(NEXT) | instid1(VALU_DEP_2)
	;; [unrolled: 7-line block ×6, first 2 shown]
	v_fma_f64 v[12:13], v[12:13], v[172:173], -v[0:1]
	v_fma_f64 v[14:15], v[14:15], v[172:173], v[6:7]
	global_load_b128 v[172:175], v176, s[2:3] offset:28800
	s_wait_loadcnt 0x0
	v_mul_f64_e32 v[0:1], v[26:27], v[174:175]
	v_mul_f64_e32 v[6:7], v[24:25], v[174:175]
	s_delay_alu instid0(VALU_DEP_2) | instskip(NEXT) | instid1(VALU_DEP_2)
	v_fma_f64 v[24:25], v[24:25], v[172:173], -v[0:1]
	v_fma_f64 v[26:27], v[26:27], v[172:173], v[6:7]
	global_load_b128 v[172:175], v176, s[2:3] offset:32400
	s_wait_loadcnt 0x0
	v_mul_f64_e32 v[0:1], v[42:43], v[174:175]
	v_mul_f64_e32 v[6:7], v[40:41], v[174:175]
	s_delay_alu instid0(VALU_DEP_2) | instskip(NEXT) | instid1(VALU_DEP_2)
	v_fma_f64 v[40:41], v[40:41], v[172:173], -v[0:1]
	v_fma_f64 v[42:43], v[42:43], v[172:173], v[6:7]
	v_mul_f64_e32 v[0:1], v[194:195], v[190:191]
	v_mul_f64_e32 v[6:7], v[192:193], v[190:191]
	s_delay_alu instid0(VALU_DEP_2) | instskip(NEXT) | instid1(VALU_DEP_2)
	v_fma_f64 v[172:173], v[192:193], v[188:189], -v[0:1]
	v_fma_f64 v[174:175], v[194:195], v[188:189], v[6:7]
	;; [unrolled: 5-line block ×4, first 2 shown]
	global_load_b128 v[216:219], v176, s[2:3] offset:33840
	v_mul_f64_e32 v[0:1], v[230:231], v[226:227]
	v_mul_f64_e32 v[6:7], v[228:229], v[226:227]
	s_delay_alu instid0(VALU_DEP_2) | instskip(SKIP_1) | instid1(VALU_DEP_3)
	v_fma_f64 v[200:201], v[228:229], v[224:225], -v[0:1]
	v_mul_f64_e32 v[0:1], v[242:243], v[238:239]
	v_fma_f64 v[202:203], v[230:231], v[224:225], v[6:7]
	v_mul_f64_e32 v[6:7], v[240:241], v[238:239]
	s_delay_alu instid0(VALU_DEP_3) | instskip(SKIP_1) | instid1(VALU_DEP_3)
	v_fma_f64 v[204:205], v[240:241], v[236:237], -v[0:1]
	v_mul_f64_e32 v[0:1], v[254:255], v[250:251]
	v_fma_f64 v[206:207], v[242:243], v[236:237], v[6:7]
	v_mul_f64_e32 v[6:7], v[252:253], v[250:251]
	s_delay_alu instid0(VALU_DEP_3) | instskip(SKIP_1) | instid1(VALU_DEP_3)
	;; [unrolled: 5-line block ×4, first 2 shown]
	v_fma_f64 v[34:35], v[36:37], v[32:33], -v[0:1]
	v_mul_f64_e32 v[0:1], v[50:51], v[46:47]
	v_fma_f64 v[36:37], v[38:39], v[32:33], v[6:7]
	v_mul_f64_e32 v[6:7], v[48:49], v[46:47]
	s_delay_alu instid0(VALU_DEP_3) | instskip(NEXT) | instid1(VALU_DEP_2)
	v_fma_f64 v[46:47], v[48:49], v[44:45], -v[0:1]
	v_fma_f64 v[48:49], v[50:51], v[44:45], v[6:7]
	s_wait_loadcnt 0x0
	v_mul_f64_e32 v[0:1], v[10:11], v[218:219]
	v_mul_f64_e32 v[16:17], v[8:9], v[218:219]
	s_delay_alu instid0(VALU_DEP_2) | instskip(NEXT) | instid1(VALU_DEP_2)
	v_fma_f64 v[6:7], v[8:9], v[216:217], -v[0:1]
	v_fma_f64 v[8:9], v[10:11], v[216:217], v[16:17]
	ds_store_b128 v176, v[184:187] offset:3600
	ds_store_b128 v176, v[172:175] offset:1440
	;; [unrolled: 1-line block ×18, first 2 shown]
	ds_store_b128 v176, v[2:5]
	ds_store_b128 v176, v[6:9] offset:33840
	s_and_saveexec_b32 s1, vcc_lo
	s_cbranch_execz .LBB0_17
; %bb.16:
	s_wait_alu 0xfffe
	v_add_co_u32 v40, s2, s2, v176
	s_wait_alu 0xf1ff
	v_add_co_ci_u32_e64 v41, null, s3, 0, s2
	s_clause 0x9
	global_load_b128 v[0:3], v[40:41], off offset:2880
	global_load_b128 v[4:7], v[40:41], off offset:6480
	;; [unrolled: 1-line block ×10, first 2 shown]
	ds_load_b128 v[44:47], v176 offset:2880
	ds_load_b128 v[48:51], v176 offset:35280
	;; [unrolled: 1-line block ×10, first 2 shown]
	s_wait_loadcnt_dscnt 0x909
	v_mul_f64_e32 v[52:53], v[46:47], v[2:3]
	v_mul_f64_e32 v[2:3], v[44:45], v[2:3]
	s_wait_loadcnt_dscnt 0x807
	v_mul_f64_e32 v[54:55], v[174:175], v[6:7]
	v_mul_f64_e32 v[6:7], v[172:173], v[6:7]
	;; [unrolled: 3-line block ×8, first 2 shown]
	s_wait_loadcnt 0x0
	v_mul_f64_e32 v[218:219], v[50:51], v[42:43]
	v_mul_f64_e32 v[42:43], v[48:49], v[42:43]
	v_fma_f64 v[44:45], v[44:45], v[0:1], -v[52:53]
	s_wait_dscnt 0x0
	v_mul_f64_e32 v[52:53], v[210:211], v[38:39]
	v_mul_f64_e32 v[38:39], v[208:209], v[38:39]
	v_fma_f64 v[46:47], v[46:47], v[0:1], v[2:3]
	v_fma_f64 v[0:1], v[172:173], v[4:5], -v[54:55]
	v_fma_f64 v[2:3], v[174:175], v[4:5], v[6:7]
	v_fma_f64 v[4:5], v[184:185], v[8:9], -v[56:57]
	;; [unrolled: 2-line block ×9, first 2 shown]
	v_fma_f64 v[38:39], v[50:51], v[40:41], v[42:43]
	ds_store_b128 v176, v[0:3] offset:6480
	ds_store_b128 v176, v[4:7] offset:10080
	;; [unrolled: 1-line block ×10, first 2 shown]
.LBB0_17:
	s_wait_alu 0xfffe
	s_or_b32 exec_lo, exec_lo, s1
	global_wb scope:SCOPE_SE
	s_wait_dscnt 0x0
	s_barrier_signal -1
	s_barrier_wait -1
	global_inv scope:SCOPE_SE
	ds_load_b128 v[220:223], v176 offset:3600
	ds_load_b128 v[216:219], v176 offset:1440
	;; [unrolled: 1-line block ×18, first 2 shown]
	ds_load_b128 v[0:3], v176
	ds_load_b128 v[192:195], v176 offset:33840
	s_and_saveexec_b32 s1, vcc_lo
	s_cbranch_execz .LBB0_19
; %bb.18:
	ds_load_b128 v[160:163], v176 offset:6480
	ds_load_b128 v[152:155], v176 offset:10080
	ds_load_b128 v[156:159], v176 offset:13680
	ds_load_b128 v[164:167], v176 offset:17280
	ds_load_b128 v[148:151], v176 offset:20880
	ds_load_b128 v[144:147], v176 offset:24480
	ds_load_b128 v[108:111], v176 offset:28080
	ds_load_b128 v[112:115], v176 offset:31680
	ds_load_b128 v[168:171], v176 offset:2880
	ds_load_b128 v[84:87], v176 offset:35280
.LBB0_19:
	s_wait_alu 0xfffe
	s_or_b32 exec_lo, exec_lo, s1
	s_wait_dscnt 0x1
	v_add_f64_e32 v[12:13], v[0:1], v[248:249]
	v_add_f64_e32 v[14:15], v[2:3], v[250:251]
	v_add_f64_e64 v[50:51], v[232:233], -v[228:229]
	v_add_f64_e64 v[178:179], v[236:237], -v[224:225]
	v_add_f64_e64 v[48:49], v[234:235], -v[230:231]
	v_add_f64_e64 v[56:57], v[234:235], -v[238:239]
	v_add_f64_e64 v[58:59], v[238:239], -v[234:235]
	v_add_f64_e32 v[6:7], v[248:249], v[240:241]
	v_add_f64_e64 v[52:53], v[232:233], -v[236:237]
	v_add_f64_e64 v[54:55], v[236:237], -v[232:233]
	v_add_f64_e32 v[10:11], v[250:251], v[242:243]
	v_add_f64_e64 v[24:25], v[240:241], -v[244:245]
	v_add_f64_e64 v[36:37], v[244:245], -v[240:241]
	v_add_f64_e32 v[4:5], v[252:253], v[244:245]
	v_add_f64_e64 v[20:21], v[248:249], -v[252:253]
	v_add_f64_e64 v[32:33], v[252:253], -v[248:249]
	v_add_f64_e64 v[26:27], v[242:243], -v[246:247]
	v_add_f64_e64 v[38:39], v[246:247], -v[242:243]
	;; [unrolled: 1-line block ×4, first 2 shown]
	s_mov_b32 s12, 0x134454ff
	s_mov_b32 s13, 0xbfee6f0e
	;; [unrolled: 1-line block ×3, first 2 shown]
	s_wait_alu 0xfffe
	s_mov_b32 s10, s12
	s_wait_dscnt 0x0
	v_add_f64_e64 v[66:67], v[186:187], -v[194:195]
	v_add_f64_e64 v[68:69], v[186:187], -v[190:191]
	;; [unrolled: 1-line block ×5, first 2 shown]
	s_mov_b32 s14, 0x4755a5e
	s_mov_b32 s15, 0xbfe2cf23
	;; [unrolled: 1-line block ×3, first 2 shown]
	s_wait_alu 0xfffe
	s_mov_b32 s16, s14
	s_mov_b32 s2, 0x372fe950
	;; [unrolled: 1-line block ×5, first 2 shown]
	global_wb scope:SCOPE_SE
	v_add_f64_e32 v[12:13], v[12:13], v[252:253]
	v_add_f64_e32 v[14:15], v[14:15], v[254:255]
	s_barrier_signal -1
	s_barrier_wait -1
	global_inv scope:SCOPE_SE
	s_mov_b32 s19, 0xbfd3c6ef
	s_wait_alu 0xfffe
	s_mov_b32 s18, s2
	v_fma_f64 v[8:9], v[6:7], -0.5, v[0:1]
	v_add_f64_e32 v[6:7], v[254:255], v[246:247]
	s_mov_b32 s23, 0xbfe9e377
	v_fma_f64 v[10:11], v[10:11], -0.5, v[2:3]
	s_mov_b32 s22, s20
	v_fma_f64 v[4:5], v[4:5], -0.5, v[0:1]
	v_add_f64_e64 v[0:1], v[250:251], -v[242:243]
	v_add_f64_e64 v[250:251], v[252:253], -v[244:245]
	;; [unrolled: 1-line block ×3, first 2 shown]
	v_add_f64_e32 v[12:13], v[12:13], v[244:245]
	v_add_f64_e32 v[14:15], v[14:15], v[246:247]
	v_add_f64_e64 v[244:245], v[210:211], -v[214:215]
	v_fma_f64 v[6:7], v[6:7], -0.5, v[2:3]
	v_add_f64_e64 v[2:3], v[248:249], -v[240:241]
	v_add_f64_e64 v[248:249], v[254:255], -v[246:247]
	;; [unrolled: 1-line block ×3, first 2 shown]
	v_add_f64_e32 v[16:17], v[12:13], v[240:241]
	v_add_f64_e32 v[12:13], v[238:239], v[226:227]
	;; [unrolled: 1-line block ×4, first 2 shown]
	v_add_f64_e64 v[242:243], v[212:213], -v[208:209]
	s_delay_alu instid0(VALU_DEP_4) | instskip(SKIP_1) | instid1(VALU_DEP_4)
	v_fma_f64 v[44:45], v[12:13], -0.5, v[222:223]
	v_add_f64_e32 v[12:13], v[234:235], v[230:231]
	v_add_f64_e32 v[14:15], v[14:15], v[238:239]
	s_delay_alu instid0(VALU_DEP_2) | instskip(SKIP_2) | instid1(VALU_DEP_4)
	v_fma_f64 v[40:41], v[12:13], -0.5, v[222:223]
	v_add_f64_e32 v[12:13], v[232:233], v[228:229]
	v_add_f64_e64 v[222:223], v[228:229], -v[224:225]
	v_add_f64_e32 v[14:15], v[14:15], v[226:227]
	s_delay_alu instid0(VALU_DEP_3) | instskip(SKIP_1) | instid1(VALU_DEP_4)
	v_fma_f64 v[42:43], v[12:13], -0.5, v[220:221]
	v_add_f64_e32 v[12:13], v[236:237], v[224:225]
	v_add_f64_e32 v[52:53], v[52:53], v[222:223]
	s_delay_alu instid0(VALU_DEP_2)
	v_fma_f64 v[46:47], v[12:13], -0.5, v[220:221]
	v_add_f64_e32 v[12:13], v[220:221], v[232:233]
	v_add_f64_e64 v[220:221], v[238:239], -v[226:227]
	v_add_f64_e64 v[232:233], v[230:231], -v[226:227]
	v_add_f64_e64 v[226:227], v[226:227], -v[230:231]
	v_add_f64_e32 v[230:231], v[14:15], v[230:231]
	v_add_f64_e32 v[14:15], v[218:219], v[210:211]
	;; [unrolled: 1-line block ×5, first 2 shown]
	s_delay_alu instid0(VALU_DEP_4) | instskip(NEXT) | instid1(VALU_DEP_4)
	v_add_f64_e32 v[14:15], v[14:15], v[214:215]
	v_add_f64_e32 v[12:13], v[12:13], v[224:225]
	v_add_f64_e64 v[224:225], v[224:225], -v[228:229]
	s_delay_alu instid0(VALU_DEP_3) | instskip(NEXT) | instid1(VALU_DEP_3)
	v_add_f64_e32 v[14:15], v[14:15], v[206:207]
	v_add_f64_e32 v[228:229], v[12:13], v[228:229]
	;; [unrolled: 1-line block ×3, first 2 shown]
	s_delay_alu instid0(VALU_DEP_4)
	v_add_f64_e32 v[54:55], v[54:55], v[224:225]
	v_add_f64_e32 v[224:225], v[34:35], v[38:39]
	v_fma_f64 v[34:35], v[220:221], s[10:11], v[42:43]
	v_fma_f64 v[42:43], v[220:221], s[12:13], v[42:43]
	v_fma_f64 v[234:235], v[12:13], -0.5, v[216:217]
	v_add_f64_e32 v[12:13], v[208:209], v[200:201]
	s_delay_alu instid0(VALU_DEP_4) | instskip(NEXT) | instid1(VALU_DEP_4)
	v_fma_f64 v[34:35], v[48:49], s[14:15], v[34:35]
	v_fma_f64 v[42:43], v[48:49], s[16:17], v[42:43]
	s_delay_alu instid0(VALU_DEP_3) | instskip(SKIP_1) | instid1(VALU_DEP_4)
	v_fma_f64 v[236:237], v[12:13], -0.5, v[216:217]
	v_add_f64_e32 v[12:13], v[214:215], v[206:207]
	v_fma_f64 v[34:35], v[54:55], s[2:3], v[34:35]
	s_delay_alu instid0(VALU_DEP_4) | instskip(NEXT) | instid1(VALU_DEP_3)
	v_fma_f64 v[42:43], v[54:55], s[2:3], v[42:43]
	v_fma_f64 v[238:239], v[12:13], -0.5, v[218:219]
	v_add_f64_e32 v[12:13], v[210:211], v[202:203]
	s_delay_alu instid0(VALU_DEP_1)
	v_fma_f64 v[240:241], v[12:13], -0.5, v[218:219]
	v_add_f64_e32 v[12:13], v[216:217], v[208:209]
	v_add_f64_e64 v[218:219], v[208:209], -v[212:213]
	v_add_f64_e64 v[208:209], v[208:209], -v[200:201]
	;; [unrolled: 1-line block ×6, first 2 shown]
	v_add_f64_e32 v[202:203], v[14:15], v[202:203]
	v_add_f64_e32 v[14:15], v[198:199], v[186:187]
	;; [unrolled: 1-line block ×3, first 2 shown]
	v_add_f64_e64 v[212:213], v[212:213], -v[204:205]
	s_delay_alu instid0(VALU_DEP_3) | instskip(NEXT) | instid1(VALU_DEP_3)
	v_add_f64_e32 v[14:15], v[14:15], v[190:191]
	v_add_f64_e32 v[12:13], v[12:13], v[204:205]
	v_add_f64_e64 v[204:205], v[204:205], -v[200:201]
	s_delay_alu instid0(VALU_DEP_3) | instskip(NEXT) | instid1(VALU_DEP_3)
	v_add_f64_e32 v[14:15], v[14:15], v[174:175]
	v_add_f64_e32 v[200:201], v[12:13], v[200:201]
	v_add_f64_e32 v[12:13], v[188:189], v[172:173]
	s_delay_alu instid0(VALU_DEP_1) | instskip(SKIP_1) | instid1(VALU_DEP_1)
	v_fma_f64 v[254:255], v[12:13], -0.5, v[196:197]
	v_add_f64_e32 v[12:13], v[190:191], v[174:175]
	v_fma_f64 v[60:61], v[12:13], -0.5, v[198:199]
	v_add_f64_e32 v[12:13], v[186:187], v[194:195]
	v_add_f64_e64 v[186:187], v[190:191], -v[174:175]
	v_add_f64_e64 v[190:191], v[192:193], -v[172:173]
	s_delay_alu instid0(VALU_DEP_3) | instskip(SKIP_2) | instid1(VALU_DEP_2)
	v_fma_f64 v[62:63], v[12:13], -0.5, v[198:199]
	v_add_f64_e32 v[12:13], v[184:185], v[192:193]
	v_add_f64_e64 v[198:199], v[188:189], -v[184:185]
	v_fma_f64 v[64:65], v[12:13], -0.5, v[196:197]
	v_add_f64_e32 v[12:13], v[196:197], v[184:185]
	v_add_f64_e64 v[196:197], v[184:185], -v[188:189]
	v_add_f64_e64 v[184:185], v[184:185], -v[192:193]
	s_delay_alu instid0(VALU_DEP_3) | instskip(SKIP_1) | instid1(VALU_DEP_2)
	v_add_f64_e32 v[12:13], v[12:13], v[188:189]
	v_add_f64_e64 v[188:189], v[188:189], -v[172:173]
	v_add_f64_e32 v[12:13], v[12:13], v[172:173]
	v_add_f64_e64 v[172:173], v[172:173], -v[192:193]
	s_delay_alu instid0(VALU_DEP_2)
	v_add_f64_e32 v[174:175], v[12:13], v[192:193]
	v_add_f64_e32 v[192:193], v[14:15], v[194:195]
	;; [unrolled: 1-line block ×3, first 2 shown]
	v_fma_f64 v[20:21], v[50:51], s[10:11], v[44:45]
	v_add_f64_e32 v[12:13], v[16:17], v[228:229]
	v_add_f64_e64 v[16:17], v[16:17], -v[228:229]
	v_add_f64_e32 v[228:229], v[22:23], v[26:27]
	v_fma_f64 v[22:23], v[48:49], s[12:13], v[46:47]
	v_fma_f64 v[44:45], v[50:51], s[12:13], v[44:45]
	;; [unrolled: 1-line block ×3, first 2 shown]
	v_add_f64_e32 v[14:15], v[18:19], v[230:231]
	v_add_f64_e64 v[18:19], v[18:19], -v[230:231]
	v_fma_f64 v[48:49], v[184:185], s[10:11], v[60:61]
	v_fma_f64 v[20:21], v[178:179], s[16:17], v[20:21]
	;; [unrolled: 1-line block ×3, first 2 shown]
	s_delay_alu instid0(VALU_DEP_3) | instskip(NEXT) | instid1(VALU_DEP_3)
	v_fma_f64 v[48:49], v[188:189], s[16:17], v[48:49]
	v_fma_f64 v[20:21], v[56:57], s[2:3], v[20:21]
	s_delay_alu instid0(VALU_DEP_3) | instskip(NEXT) | instid1(VALU_DEP_2)
	v_fma_f64 v[22:23], v[52:53], s[2:3], v[22:23]
	v_mul_f64_e32 v[24:25], s[14:15], v[20:21]
	s_delay_alu instid0(VALU_DEP_1) | instskip(SKIP_1) | instid1(VALU_DEP_1)
	v_fma_f64 v[24:25], v[22:23], s[20:21], v[24:25]
	v_mul_f64_e32 v[22:23], s[16:17], v[22:23]
	v_fma_f64 v[26:27], v[20:21], s[20:21], v[22:23]
	v_fma_f64 v[20:21], v[0:1], s[12:13], v[4:5]
	;; [unrolled: 1-line block ×3, first 2 shown]
	s_delay_alu instid0(VALU_DEP_2) | instskip(NEXT) | instid1(VALU_DEP_2)
	v_fma_f64 v[20:21], v[248:249], s[14:15], v[20:21]
	v_fma_f64 v[22:23], v[250:251], s[16:17], v[22:23]
	s_delay_alu instid0(VALU_DEP_2) | instskip(NEXT) | instid1(VALU_DEP_2)
	v_fma_f64 v[222:223], v[194:195], s[2:3], v[20:21]
	v_fma_f64 v[230:231], v[228:229], s[2:3], v[22:23]
	s_delay_alu instid0(VALU_DEP_2)
	v_add_f64_e32 v[20:21], v[222:223], v[24:25]
	v_add_f64_e64 v[24:25], v[222:223], -v[24:25]
	v_add_f64_e32 v[222:223], v[32:33], v[36:37]
	v_fma_f64 v[32:33], v[178:179], s[12:13], v[40:41]
	v_fma_f64 v[40:41], v[178:179], s[10:11], v[40:41]
	v_add_f64_e32 v[22:23], v[230:231], v[26:27]
	v_add_f64_e64 v[26:27], v[230:231], -v[26:27]
	s_delay_alu instid0(VALU_DEP_4) | instskip(NEXT) | instid1(VALU_DEP_4)
	v_fma_f64 v[32:33], v[50:51], s[16:17], v[32:33]
	v_fma_f64 v[40:41], v[50:51], s[14:15], v[40:41]
	;; [unrolled: 1-line block ×4, first 2 shown]
	s_delay_alu instid0(VALU_DEP_4) | instskip(NEXT) | instid1(VALU_DEP_4)
	v_fma_f64 v[32:33], v[58:59], s[2:3], v[32:33]
	v_fma_f64 v[40:41], v[58:59], s[2:3], v[40:41]
	s_delay_alu instid0(VALU_DEP_4) | instskip(NEXT) | instid1(VALU_DEP_4)
	v_fma_f64 v[50:51], v[188:189], s[14:15], v[50:51]
	v_fma_f64 v[60:61], v[216:217], s[14:15], v[60:61]
	s_delay_alu instid0(VALU_DEP_4) | instskip(SKIP_1) | instid1(VALU_DEP_2)
	v_mul_f64_e32 v[36:37], s[12:13], v[32:33]
	v_mul_f64_e32 v[32:33], s[2:3], v[32:33]
	v_fma_f64 v[36:37], v[34:35], s[2:3], v[36:37]
	s_delay_alu instid0(VALU_DEP_2) | instskip(SKIP_3) | instid1(VALU_DEP_3)
	v_fma_f64 v[38:39], v[34:35], s[10:11], v[32:33]
	v_fma_f64 v[32:33], v[248:249], s[10:11], v[8:9]
	;; [unrolled: 1-line block ×5, first 2 shown]
	s_delay_alu instid0(VALU_DEP_3) | instskip(SKIP_1) | instid1(VALU_DEP_4)
	v_fma_f64 v[8:9], v[0:1], s[16:17], v[8:9]
	v_fma_f64 v[0:1], v[0:1], s[10:11], v[4:5]
	;; [unrolled: 1-line block ×11, first 2 shown]
	s_wait_alu 0xfffe
	v_mul_f64_e32 v[10:11], s[18:19], v[40:41]
	v_fma_f64 v[56:57], v[216:217], s[12:13], v[234:235]
	v_fma_f64 v[178:179], v[208:209], s[14:15], v[178:179]
	v_add_f64_e32 v[32:33], v[226:227], v[36:37]
	v_add_f64_e64 v[36:37], v[226:227], -v[36:37]
	v_fma_f64 v[0:1], v[194:195], s[2:3], v[0:1]
	scratch_load_b32 v194, off, off offset:436 th:TH_LOAD_LU ; 4-byte Folded Reload
	v_fma_f64 v[8:9], v[2:3], s[14:15], v[8:9]
	v_fma_f64 v[2:3], v[2:3], s[12:13], v[6:7]
	;; [unrolled: 1-line block ×3, first 2 shown]
	v_add_f64_e32 v[34:35], v[230:231], v[38:39]
	v_fma_f64 v[56:57], v[214:215], s[14:15], v[56:57]
	v_add_f64_e64 v[38:39], v[230:231], -v[38:39]
	s_wait_loadcnt 0x0
	ds_store_b128 v194, v[12:15]
	ds_store_b128 v194, v[20:23] offset:16
	ds_store_b128 v194, v[32:35] offset:32
	v_fma_f64 v[2:3], v[250:251], s[14:15], v[2:3]
	v_fma_f64 v[58:59], v[224:225], s[2:3], v[8:9]
	v_mul_f64_e32 v[8:9], s[12:13], v[40:41]
	v_fma_f64 v[6:7], v[52:53], s[2:3], v[6:7]
	v_add_f64_e32 v[14:15], v[68:69], v[72:73]
	v_fma_f64 v[52:53], v[188:189], s[12:13], v[62:63]
	v_fma_f64 v[68:69], v[66:67], s[12:13], v[254:255]
	;; [unrolled: 1-line block ×4, first 2 shown]
	v_add_f64_e32 v[12:13], v[198:199], v[172:173]
	v_add_f64_e32 v[20:21], v[70:71], v[74:75]
	v_fma_f64 v[70:71], v[66:67], s[10:11], v[254:255]
	v_fma_f64 v[74:75], v[208:209], s[12:13], v[238:239]
	v_fma_f64 v[172:173], v[212:213], s[12:13], v[240:241]
	v_add_f64_e32 v[22:23], v[242:243], v[204:205]
	v_add_f64_e32 v[32:33], v[244:245], v[252:253]
	;; [unrolled: 1-line block ×3, first 2 shown]
	v_add_f64_e64 v[198:199], v[166:167], -v[146:147]
	v_add_f64_e64 v[210:211], v[164:165], -v[144:145]
	v_fma_f64 v[46:47], v[228:229], s[2:3], v[2:3]
	v_mul_f64_e32 v[2:3], s[14:15], v[4:5]
	v_mul_f64_e32 v[4:5], s[22:23], v[4:5]
	v_fma_f64 v[40:41], v[42:43], s[18:19], v[8:9]
	v_fma_f64 v[42:43], v[42:43], s[10:11], v[10:11]
	;; [unrolled: 1-line block ×13, first 2 shown]
	v_add_f64_e64 v[186:187], v[158:159], -v[150:151]
	v_fma_f64 v[44:45], v[6:7], s[22:23], v[2:3]
	v_fma_f64 v[6:7], v[6:7], s[16:17], v[4:5]
	v_add_f64_e32 v[8:9], v[54:55], v[40:41]
	v_add_f64_e32 v[10:11], v[58:59], v[42:43]
	v_add_f64_e64 v[40:41], v[54:55], -v[40:41]
	v_add_f64_e64 v[42:43], v[58:59], -v[42:43]
	v_fma_f64 v[54:55], v[188:189], s[10:11], v[62:63]
	v_fma_f64 v[58:59], v[216:217], s[10:11], v[234:235]
	;; [unrolled: 1-line block ×5, first 2 shown]
	v_add_f64_e64 v[188:189], v[86:87], -v[110:111]
	v_add_f64_e32 v[2:3], v[0:1], v[44:45]
	v_add_f64_e32 v[4:5], v[46:47], v[6:7]
	v_add_f64_e64 v[46:47], v[46:47], -v[6:7]
	v_add_f64_e32 v[6:7], v[196:197], v[190:191]
	v_add_f64_e64 v[44:45], v[0:1], -v[44:45]
	v_add_f64_e32 v[0:1], v[218:219], v[246:247]
	v_fma_f64 v[54:55], v[184:185], s[14:15], v[54:55]
	v_fma_f64 v[58:59], v[214:215], s[16:17], v[58:59]
	;; [unrolled: 1-line block ×3, first 2 shown]
	ds_store_b128 v194, v[8:11] offset:48
	v_add_f64_e32 v[8:9], v[164:165], v[144:145]
	v_add_f64_e32 v[184:185], v[166:167], v[146:147]
	ds_store_b128 v194, v[16:19] offset:80
	ds_store_b128 v194, v[2:5] offset:64
	v_add_f64_e64 v[2:3], v[158:159], -v[86:87]
	ds_store_b128 v194, v[24:27] offset:96
	ds_store_b128 v194, v[36:39] offset:112
	v_fma_f64 v[50:51], v[6:7], s[2:3], v[68:69]
	v_fma_f64 v[68:69], v[34:35], s[2:3], v[178:179]
	;; [unrolled: 1-line block ×8, first 2 shown]
	v_mul_f64_e32 v[0:1], s[14:15], v[48:49]
	v_fma_f64 v[64:65], v[34:35], s[2:3], v[172:173]
	v_fma_f64 v[34:35], v[32:33], s[2:3], v[66:67]
	;; [unrolled: 1-line block ×3, first 2 shown]
	v_mul_f64_e32 v[32:33], s[12:13], v[52:53]
	v_fma_f64 v[6:7], v[6:7], s[2:3], v[70:71]
	v_mul_f64_e32 v[52:53], s[2:3], v[52:53]
	v_add_f64_e32 v[10:11], v[200:201], v[174:175]
	ds_store_b128 v194, v[40:43] offset:128
	ds_store_b128 v194, v[44:47] offset:144
	v_add_f64_e64 v[4:5], v[154:155], -v[114:115]
	v_add_f64_e64 v[194:195], v[156:157], -v[148:149]
	;; [unrolled: 1-line block ×4, first 2 shown]
	v_mul_f64_e32 v[22:23], s[16:17], v[50:51]
	v_fma_f64 v[50:51], v[50:51], s[20:21], v[0:1]
	v_mul_f64_e32 v[0:1], s[12:13], v[20:21]
	v_mul_f64_e32 v[20:21], s[18:19], v[20:21]
	v_fma_f64 v[70:71], v[54:55], s[2:3], v[32:33]
	v_add_f64_e32 v[32:33], v[150:151], v[110:111]
	v_fma_f64 v[52:53], v[54:55], s[10:11], v[52:53]
	v_fma_f64 v[48:49], v[48:49], s[20:21], v[22:23]
	v_mul_f64_e32 v[22:23], s[14:15], v[14:15]
	v_mul_f64_e32 v[14:15], s[22:23], v[14:15]
	v_add_f64_e32 v[18:19], v[56:57], v[50:51]
	v_fma_f64 v[54:55], v[12:13], s[18:19], v[0:1]
	v_fma_f64 v[72:73], v[12:13], s[10:11], v[20:21]
	v_add_f64_e32 v[12:13], v[148:149], v[108:109]
	v_add_f64_e64 v[0:1], v[156:157], -v[84:85]
	v_fma_f64 v[178:179], v[32:33], -0.5, v[162:163]
	v_add_f64_e64 v[38:39], v[64:65], -v[52:53]
	v_add_f64_e32 v[32:33], v[60:61], v[70:71]
	v_add_f64_e64 v[36:37], v[60:61], -v[70:71]
	v_add_f64_e32 v[20:21], v[34:35], v[48:49]
	v_fma_f64 v[74:75], v[6:7], s[22:23], v[22:23]
	v_fma_f64 v[172:173], v[6:7], s[16:17], v[14:15]
	v_add_f64_e64 v[6:7], v[148:149], -v[108:109]
	v_add_f64_e64 v[22:23], v[56:57], -v[50:51]
	;; [unrolled: 1-line block ×3, first 2 shown]
	v_add_f64_e32 v[34:35], v[64:65], v[52:53]
	v_add_f64_e64 v[52:53], v[152:153], -v[164:165]
	v_fma_f64 v[56:57], v[8:9], -0.5, v[168:169]
	v_add_f64_e32 v[40:41], v[62:63], v[54:55]
	v_add_f64_e64 v[44:45], v[62:63], -v[54:55]
	v_fma_f64 v[190:191], v[12:13], -0.5, v[160:161]
	v_add_f64_e32 v[12:13], v[202:203], v[192:193]
	v_fma_f64 v[26:27], v[0:1], s[12:13], v[178:179]
	v_add_f64_e64 v[54:55], v[112:113], -v[144:145]
	v_add_f64_e64 v[8:9], v[152:153], -v[112:113]
	;; [unrolled: 1-line block ×3, first 2 shown]
	v_fma_f64 v[60:61], v[0:1], s[10:11], v[178:179]
	v_add_f64_e64 v[200:201], v[150:151], -v[110:111]
	v_add_f64_e32 v[62:63], v[186:187], v[188:189]
	ds_store_b128 v177, v[10:13]
	ds_store_b128 v177, v[18:21] offset:16
	v_add_f64_e32 v[48:49], v[58:59], v[74:75]
	v_add_f64_e64 v[220:221], v[58:59], -v[74:75]
	v_fma_f64 v[58:59], v[184:185], -0.5, v[170:171]
	v_add_f64_e32 v[50:51], v[66:67], v[172:173]
	v_add_f64_e64 v[222:223], v[66:67], -v[172:173]
	v_fma_f64 v[64:65], v[2:3], s[12:13], v[190:191]
	v_fma_f64 v[66:67], v[2:3], s[10:11], v[190:191]
	;; [unrolled: 1-line block ×3, first 2 shown]
	v_add_f64_e64 v[10:11], v[154:155], -v[166:167]
	v_add_f64_e64 v[12:13], v[114:115], -v[146:147]
	v_add_f64_e32 v[18:19], v[52:53], v[54:55]
	v_fma_f64 v[20:21], v[4:5], s[12:13], v[56:57]
	v_fma_f64 v[52:53], v[4:5], s[10:11], v[56:57]
	v_add_f64_e32 v[42:43], v[68:69], v[72:73]
	v_add_f64_e64 v[46:47], v[68:69], -v[72:73]
	v_add_f64_e32 v[68:69], v[194:195], v[196:197]
	ds_store_b128 v177, v[32:35] offset:32
	ds_store_b128 v177, v[40:43] offset:48
	v_fma_f64 v[54:55], v[8:9], s[10:11], v[58:59]
	v_fma_f64 v[56:57], v[8:9], s[12:13], v[58:59]
	;; [unrolled: 1-line block ×6, first 2 shown]
	v_add_f64_e32 v[12:13], v[10:11], v[12:13]
	v_fma_f64 v[10:11], v[198:199], s[14:15], v[20:21]
	v_fma_f64 v[20:21], v[198:199], s[16:17], v[52:53]
	ds_store_b128 v177, v[48:51] offset:64
	ds_store_b128 v177, v[14:17] offset:80
	;; [unrolled: 1-line block ×6, first 2 shown]
	v_fma_f64 v[52:53], v[210:211], s[16:17], v[54:55]
	v_fma_f64 v[54:55], v[210:211], s[14:15], v[56:57]
	;; [unrolled: 1-line block ×5, first 2 shown]
	v_mul_f64_e32 v[62:63], s[14:15], v[26:27]
	v_mul_f64_e32 v[26:27], s[22:23], v[26:27]
	v_fma_f64 v[192:193], v[18:19], s[2:3], v[10:11]
	v_fma_f64 v[10:11], v[18:19], s[2:3], v[20:21]
	v_add_f64_e32 v[18:19], v[168:169], v[152:153]
	v_add_f64_e32 v[20:21], v[160:161], v[156:157]
	v_fma_f64 v[196:197], v[12:13], s[2:3], v[52:53]
	v_fma_f64 v[208:209], v[12:13], s[2:3], v[54:55]
	v_add_f64_e32 v[12:13], v[170:171], v[154:155]
	v_add_f64_e32 v[52:53], v[162:163], v[158:159]
	v_fma_f64 v[194:195], v[60:61], s[22:23], v[62:63]
	v_fma_f64 v[212:213], v[60:61], s[16:17], v[26:27]
	v_mul_f64_e32 v[26:27], s[14:15], v[56:57]
	v_add_f64_e32 v[18:19], v[18:19], v[164:165]
	v_add_f64_e32 v[20:21], v[20:21], v[148:149]
	;; [unrolled: 1-line block ×6, first 2 shown]
	v_fma_f64 v[202:203], v[58:59], s[20:21], v[26:27]
	v_add_f64_e32 v[18:19], v[18:19], v[144:145]
	v_add_f64_e32 v[20:21], v[20:21], v[108:109]
	;; [unrolled: 1-line block ×4, first 2 shown]
	v_mul_f64_e32 v[52:53], s[16:17], v[58:59]
	v_add_f64_e64 v[188:189], v[192:193], -v[202:203]
	v_add_f64_e32 v[204:205], v[18:19], v[112:113]
	v_add_f64_e32 v[206:207], v[20:21], v[84:85]
	;; [unrolled: 1-line block ×4, first 2 shown]
	v_fma_f64 v[218:219], v[56:57], s[20:21], v[52:53]
	s_delay_alu instid0(VALU_DEP_4) | instskip(NEXT) | instid1(VALU_DEP_3)
	v_add_f64_e64 v[184:185], v[204:205], -v[206:207]
	v_add_f64_e64 v[186:187], v[214:215], -v[216:217]
	s_delay_alu instid0(VALU_DEP_3)
	v_add_f64_e64 v[190:191], v[196:197], -v[218:219]
	s_and_saveexec_b32 s1, vcc_lo
	s_cbranch_execz .LBB0_21
; %bb.20:
	v_add_f64_e32 v[12:13], v[158:159], v[86:87]
	v_add_f64_e32 v[14:15], v[156:157], v[84:85]
	;; [unrolled: 1-line block ×3, first 2 shown]
	v_add_f64_e64 v[18:19], v[150:151], -v[158:159]
	v_add_f64_e32 v[20:21], v[152:153], v[112:113]
	v_add_f64_e64 v[22:23], v[110:111], -v[86:87]
	v_add_f64_e64 v[26:27], v[108:109], -v[84:85]
	;; [unrolled: 1-line block ×5, first 2 shown]
	v_fma_f64 v[12:13], v[12:13], -0.5, v[162:163]
	v_fma_f64 v[14:15], v[14:15], -0.5, v[160:161]
	;; [unrolled: 1-line block ×4, first 2 shown]
	v_add_f64_e32 v[18:19], v[18:19], v[22:23]
	v_fma_f64 v[24:25], v[6:7], s[10:11], v[12:13]
	v_fma_f64 v[6:7], v[6:7], s[12:13], v[12:13]
	v_add_f64_e64 v[12:13], v[148:149], -v[156:157]
	v_fma_f64 v[22:23], v[200:201], s[12:13], v[14:15]
	v_fma_f64 v[14:15], v[200:201], s[10:11], v[14:15]
	;; [unrolled: 1-line block ×6, first 2 shown]
	v_add_f64_e64 v[6:7], v[166:167], -v[154:155]
	v_add_f64_e32 v[12:13], v[12:13], v[26:27]
	v_fma_f64 v[26:27], v[210:211], s[10:11], v[16:17]
	v_fma_f64 v[16:17], v[210:211], s[12:13], v[16:17]
	;; [unrolled: 1-line block ×4, first 2 shown]
	v_add_f64_e32 v[14:15], v[34:35], v[36:37]
	v_fma_f64 v[24:25], v[18:19], s[2:3], v[24:25]
	v_fma_f64 v[0:1], v[18:19], s[2:3], v[0:1]
	v_add_f64_e32 v[6:7], v[6:7], v[32:33]
	v_fma_f64 v[18:19], v[8:9], s[14:15], v[26:27]
	v_fma_f64 v[8:9], v[8:9], s[16:17], v[16:17]
	;; [unrolled: 1-line block ×6, first 2 shown]
	v_mul_f64_e32 v[22:23], s[18:19], v[24:25]
	v_mul_f64_e32 v[12:13], s[2:3], v[0:1]
	;; [unrolled: 1-line block ×4, first 2 shown]
	v_fma_f64 v[26:27], v[6:7], s[2:3], v[18:19]
	v_fma_f64 v[8:9], v[6:7], s[2:3], v[8:9]
	;; [unrolled: 1-line block ×4, first 2 shown]
	v_add_f64_e32 v[14:15], v[214:215], v[216:217]
	v_add_f64_e32 v[6:7], v[196:197], v[218:219]
	;; [unrolled: 1-line block ×3, first 2 shown]
	v_fma_f64 v[22:23], v[20:21], s[10:11], v[22:23]
	v_fma_f64 v[34:35], v[2:3], s[10:11], v[12:13]
	;; [unrolled: 1-line block ×4, first 2 shown]
	v_add_f64_e32 v[12:13], v[204:205], v[206:207]
	v_add_f64_e64 v[2:3], v[208:209], -v[212:213]
	v_add_f64_e64 v[18:19], v[26:27], -v[22:23]
	v_add_f64_e32 v[22:23], v[26:27], v[22:23]
	v_add_f64_e32 v[26:27], v[8:9], v[34:35]
	v_add_f64_e64 v[34:35], v[8:9], -v[34:35]
	scratch_load_b32 v8, off, off offset:1356 th:TH_LOAD_LU ; 4-byte Folded Reload
	v_add_f64_e32 v[24:25], v[32:33], v[0:1]
	v_add_f64_e32 v[20:21], v[16:17], v[36:37]
	v_add_f64_e64 v[32:33], v[32:33], -v[0:1]
	v_add_f64_e64 v[16:17], v[16:17], -v[36:37]
	;; [unrolled: 1-line block ×3, first 2 shown]
	s_wait_loadcnt 0x0
	v_lshlrev_b32_e32 v8, 4, v8
	ds_store_b128 v8, v[172:175] offset:64
	ds_store_b128 v8, v[184:187] offset:80
	ds_store_b128 v8, v[12:15]
	ds_store_b128 v8, v[4:7] offset:16
	ds_store_b128 v8, v[24:27] offset:32
	;; [unrolled: 1-line block ×7, first 2 shown]
.LBB0_21:
	s_wait_alu 0xfffe
	s_or_b32 exec_lo, exec_lo, s1
	global_wb scope:SCOPE_SE
	s_wait_dscnt 0x0
	s_barrier_signal -1
	s_barrier_wait -1
	global_inv scope:SCOPE_SE
	ds_load_b128 v[0:3], v176 offset:1440
	ds_load_b128 v[152:155], v176 offset:2880
	;; [unrolled: 1-line block ×22, first 2 shown]
	ds_load_b128 v[156:159], v176
	ds_load_b128 v[160:163], v176 offset:34080
	s_and_saveexec_b32 s1, s0
	s_cbranch_execz .LBB0_23
; %bb.22:
	ds_load_b128 v[184:187], v176 offset:23520
	ds_load_b128 v[172:175], v176 offset:11520
	;; [unrolled: 1-line block ×3, first 2 shown]
.LBB0_23:
	s_wait_alu 0xfffe
	s_or_b32 exec_lo, exec_lo, s1
	s_clause 0x1
	scratch_load_b128 v[8:11], off, off offset:420 th:TH_LOAD_LU
	scratch_load_b128 v[22:25], off, off offset:1008 th:TH_LOAD_LU
	s_mov_b32 s2, 0xe8584caa
	s_mov_b32 s3, 0xbfebb67a
	;; [unrolled: 1-line block ×3, first 2 shown]
	s_wait_alu 0xfffe
	s_mov_b32 s10, s2
	s_wait_loadcnt_dscnt 0x105
	v_mul_f64_e32 v[4:5], v[10:11], v[242:243]
	v_mul_f64_e32 v[6:7], v[10:11], v[240:241]
	scratch_load_b128 v[10:13], off, off offset:504 th:TH_LOAD_LU ; 16-byte Folded Reload
	v_fma_f64 v[4:5], v[8:9], v[240:241], v[4:5]
	v_fma_f64 v[6:7], v[8:9], v[242:243], -v[6:7]
	s_wait_loadcnt_dscnt 0x3
	v_mul_f64_e32 v[8:9], v[12:13], v[238:239]
	s_delay_alu instid0(VALU_DEP_1) | instskip(SKIP_1) | instid1(VALU_DEP_2)
	v_fma_f64 v[20:21], v[10:11], v[236:237], v[8:9]
	v_mul_f64_e32 v[8:9], v[12:13], v[236:237]
	v_add_f64_e32 v[18:19], v[4:5], v[20:21]
	s_delay_alu instid0(VALU_DEP_2) | instskip(SKIP_3) | instid1(VALU_DEP_1)
	v_fma_f64 v[16:17], v[10:11], v[238:239], -v[8:9]
	scratch_load_b128 v[10:13], off, off offset:520 th:TH_LOAD_LU ; 16-byte Folded Reload
	s_wait_loadcnt 0x0
	v_mul_f64_e32 v[8:9], v[12:13], v[234:235]
	v_fma_f64 v[36:37], v[10:11], v[232:233], v[8:9]
	v_mul_f64_e32 v[8:9], v[12:13], v[232:233]
	s_delay_alu instid0(VALU_DEP_1) | instskip(SKIP_3) | instid1(VALU_DEP_1)
	v_fma_f64 v[32:33], v[10:11], v[234:235], -v[8:9]
	scratch_load_b128 v[10:13], off, off offset:536 th:TH_LOAD_LU ; 16-byte Folded Reload
	s_wait_loadcnt 0x0
	v_mul_f64_e32 v[8:9], v[12:13], v[230:231]
	v_fma_f64 v[38:39], v[10:11], v[228:229], v[8:9]
	v_mul_f64_e32 v[8:9], v[12:13], v[228:229]
	s_delay_alu instid0(VALU_DEP_1) | instskip(SKIP_4) | instid1(VALU_DEP_1)
	v_fma_f64 v[34:35], v[10:11], v[230:231], -v[8:9]
	scratch_load_b128 v[10:13], off, off offset:552 th:TH_LOAD_LU ; 16-byte Folded Reload
	v_add_f64_e64 v[40:41], v[32:33], -v[34:35]
	s_wait_loadcnt 0x0
	v_mul_f64_e32 v[8:9], v[12:13], v[226:227]
	v_fma_f64 v[48:49], v[10:11], v[224:225], v[8:9]
	v_mul_f64_e32 v[8:9], v[12:13], v[224:225]
	s_delay_alu instid0(VALU_DEP_1) | instskip(SKIP_3) | instid1(VALU_DEP_1)
	v_fma_f64 v[44:45], v[10:11], v[226:227], -v[8:9]
	scratch_load_b128 v[10:13], off, off offset:568 th:TH_LOAD_LU ; 16-byte Folded Reload
	s_wait_loadcnt 0x0
	v_mul_f64_e32 v[8:9], v[12:13], v[222:223]
	v_fma_f64 v[50:51], v[10:11], v[220:221], v[8:9]
	v_mul_f64_e32 v[8:9], v[12:13], v[220:221]
	s_delay_alu instid0(VALU_DEP_1) | instskip(SKIP_3) | instid1(VALU_DEP_1)
	v_fma_f64 v[46:47], v[10:11], v[222:223], -v[8:9]
	scratch_load_b128 v[10:13], off, off offset:928 th:TH_LOAD_LU ; 16-byte Folded Reload
	;; [unrolled: 7-line block ×10, first 2 shown]
	s_wait_loadcnt_dscnt 0x2
	v_mul_f64_e32 v[8:9], v[12:13], v[166:167]
	v_fma_f64 v[200:201], v[10:11], v[164:165], v[8:9]
	v_mul_f64_e32 v[8:9], v[12:13], v[164:165]
	s_delay_alu instid0(VALU_DEP_1) | instskip(SKIP_3) | instid1(VALU_DEP_1)
	v_fma_f64 v[202:203], v[10:11], v[166:167], -v[8:9]
	scratch_load_b128 v[10:13], off, off offset:1024 th:TH_LOAD_LU ; 16-byte Folded Reload
	s_wait_loadcnt_dscnt 0x0
	v_mul_f64_e32 v[8:9], v[12:13], v[162:163]
	v_fma_f64 v[204:205], v[10:11], v[160:161], v[8:9]
	v_mul_f64_e32 v[8:9], v[12:13], v[160:161]
	scratch_load_b128 v[12:15], off, off offset:1040 th:TH_LOAD_LU ; 16-byte Folded Reload
	global_wb scope:SCOPE_SE
	s_wait_loadcnt 0x0
	s_barrier_signal -1
	s_barrier_wait -1
	global_inv scope:SCOPE_SE
	v_fma_f64 v[206:207], v[10:11], v[162:163], -v[8:9]
	v_mul_f64_e32 v[8:9], v[14:15], v[186:187]
	v_mul_f64_e32 v[10:11], v[14:15], v[184:185]
	s_delay_alu instid0(VALU_DEP_2) | instskip(NEXT) | instid1(VALU_DEP_2)
	v_fma_f64 v[8:9], v[12:13], v[184:185], v[8:9]
	v_fma_f64 v[14:15], v[12:13], v[186:187], -v[10:11]
	v_mul_f64_e32 v[10:11], v[24:25], v[190:191]
	v_mul_f64_e32 v[12:13], v[24:25], v[188:189]
	v_add_f64_e32 v[24:25], v[156:157], v[4:5]
	v_add_f64_e64 v[4:5], v[4:5], -v[20:21]
	s_delay_alu instid0(VALU_DEP_4) | instskip(NEXT) | instid1(VALU_DEP_4)
	v_fma_f64 v[10:11], v[22:23], v[188:189], v[10:11]
	v_fma_f64 v[12:13], v[22:23], v[190:191], -v[12:13]
	v_fma_f64 v[22:23], v[18:19], -0.5, v[156:157]
	v_add_f64_e32 v[18:19], v[6:7], v[16:17]
	s_delay_alu instid0(VALU_DEP_1) | instskip(SKIP_2) | instid1(VALU_DEP_2)
	v_fma_f64 v[26:27], v[18:19], -0.5, v[158:159]
	v_add_f64_e32 v[18:19], v[158:159], v[6:7]
	v_add_f64_e64 v[6:7], v[6:7], -v[16:17]
	v_add_f64_e32 v[18:19], v[18:19], v[16:17]
	v_add_f64_e32 v[16:17], v[24:25], v[20:21]
	s_delay_alu instid0(VALU_DEP_3)
	v_fma_f64 v[20:21], v[6:7], s[2:3], v[22:23]
	s_wait_alu 0xfffe
	v_fma_f64 v[24:25], v[6:7], s[10:11], v[22:23]
	v_fma_f64 v[22:23], v[4:5], s[10:11], v[26:27]
	;; [unrolled: 1-line block ×3, first 2 shown]
	v_add_f64_e32 v[4:5], v[36:37], v[38:39]
	v_add_f64_e32 v[6:7], v[32:33], v[34:35]
	s_delay_alu instid0(VALU_DEP_2) | instskip(SKIP_1) | instid1(VALU_DEP_3)
	v_fma_f64 v[4:5], v[4:5], -0.5, v[0:1]
	v_add_f64_e32 v[0:1], v[0:1], v[36:37]
	v_fma_f64 v[6:7], v[6:7], -0.5, v[2:3]
	v_add_f64_e32 v[2:3], v[2:3], v[32:33]
	s_delay_alu instid0(VALU_DEP_3) | instskip(SKIP_1) | instid1(VALU_DEP_3)
	v_add_f64_e32 v[32:33], v[0:1], v[38:39]
	v_add_f64_e64 v[0:1], v[36:37], -v[38:39]
	v_add_f64_e32 v[34:35], v[2:3], v[34:35]
	v_fma_f64 v[36:37], v[40:41], s[2:3], v[4:5]
	v_fma_f64 v[40:41], v[40:41], s[10:11], v[4:5]
	v_add_f64_e32 v[2:3], v[44:45], v[46:47]
	v_add_f64_e32 v[4:5], v[154:155], v[44:45]
	v_fma_f64 v[38:39], v[0:1], s[10:11], v[6:7]
	v_fma_f64 v[42:43], v[0:1], s[2:3], v[6:7]
	v_add_f64_e32 v[0:1], v[48:49], v[50:51]
	v_add_f64_e32 v[6:7], v[152:153], v[48:49]
	v_fma_f64 v[2:3], v[2:3], -0.5, v[154:155]
	s_delay_alu instid0(VALU_DEP_3)
	v_fma_f64 v[0:1], v[0:1], -0.5, v[152:153]
	v_add_f64_e64 v[152:153], v[44:45], -v[46:47]
	v_add_f64_e32 v[46:47], v[4:5], v[46:47]
	v_add_f64_e64 v[4:5], v[48:49], -v[50:51]
	v_add_f64_e32 v[44:45], v[6:7], v[50:51]
	v_add_f64_e32 v[6:7], v[148:149], v[52:53]
	v_fma_f64 v[48:49], v[152:153], s[2:3], v[0:1]
	v_fma_f64 v[152:153], v[152:153], s[10:11], v[0:1]
	v_add_f64_e32 v[0:1], v[52:53], v[56:57]
	v_fma_f64 v[50:51], v[4:5], s[10:11], v[2:3]
	v_fma_f64 v[154:155], v[4:5], s[2:3], v[2:3]
	v_add_f64_e32 v[2:3], v[54:55], v[58:59]
	v_add_f64_e32 v[4:5], v[150:151], v[54:55]
	v_add_f64_e64 v[54:55], v[54:55], -v[58:59]
	v_fma_f64 v[0:1], v[0:1], -0.5, v[148:149]
	v_add_f64_e32 v[148:149], v[6:7], v[56:57]
	v_add_f64_e32 v[6:7], v[144:145], v[60:61]
	v_fma_f64 v[2:3], v[2:3], -0.5, v[150:151]
	v_add_f64_e32 v[150:151], v[4:5], v[58:59]
	v_add_f64_e64 v[4:5], v[52:53], -v[56:57]
	v_add_f64_e64 v[52:53], v[62:63], -v[66:67]
	v_fma_f64 v[156:157], v[54:55], s[2:3], v[0:1]
	v_fma_f64 v[160:161], v[54:55], s[10:11], v[0:1]
	v_add_f64_e32 v[0:1], v[60:61], v[64:65]
	v_fma_f64 v[158:159], v[4:5], s[10:11], v[2:3]
	v_fma_f64 v[162:163], v[4:5], s[2:3], v[2:3]
	v_add_f64_e32 v[2:3], v[62:63], v[66:67]
	v_add_f64_e32 v[4:5], v[146:147], v[62:63]
	v_fma_f64 v[0:1], v[0:1], -0.5, v[144:145]
	v_add_f64_e32 v[144:145], v[6:7], v[64:65]
	v_add_f64_e32 v[6:7], v[112:113], v[68:69]
	v_fma_f64 v[2:3], v[2:3], -0.5, v[146:147]
	v_add_f64_e32 v[146:147], v[4:5], v[66:67]
	v_add_f64_e64 v[4:5], v[60:61], -v[64:65]
	v_fma_f64 v[164:165], v[52:53], s[2:3], v[0:1]
	v_fma_f64 v[168:169], v[52:53], s[10:11], v[0:1]
	v_add_f64_e32 v[0:1], v[68:69], v[72:73]
	v_add_f64_e64 v[52:53], v[70:71], -v[74:75]
	v_fma_f64 v[166:167], v[4:5], s[10:11], v[2:3]
	v_fma_f64 v[170:171], v[4:5], s[2:3], v[2:3]
	v_add_f64_e32 v[2:3], v[70:71], v[74:75]
	v_add_f64_e32 v[4:5], v[114:115], v[70:71]
	v_fma_f64 v[0:1], v[0:1], -0.5, v[112:113]
	v_add_f64_e32 v[112:113], v[6:7], v[72:73]
	v_add_f64_e32 v[6:7], v[108:109], v[177:178]
	v_fma_f64 v[2:3], v[2:3], -0.5, v[114:115]
	v_add_f64_e32 v[114:115], v[4:5], v[74:75]
	v_add_f64_e64 v[4:5], v[68:69], -v[72:73]
	v_fma_f64 v[184:185], v[52:53], s[2:3], v[0:1]
	v_fma_f64 v[188:189], v[52:53], s[10:11], v[0:1]
	v_add_f64_e32 v[0:1], v[177:178], v[194:195]
	v_add_f64_e64 v[52:53], v[192:193], -v[196:197]
	;; [unrolled: 14-line block ×3, first 2 shown]
	v_fma_f64 v[194:195], v[4:5], s[10:11], v[2:3]
	v_fma_f64 v[198:199], v[4:5], s[2:3], v[2:3]
	v_add_f64_e32 v[2:3], v[202:203], v[206:207]
	v_add_f64_e32 v[4:5], v[86:87], v[202:203]
	v_fma_f64 v[0:1], v[0:1], -0.5, v[84:85]
	v_add_f64_e32 v[84:85], v[6:7], v[204:205]
	s_delay_alu instid0(VALU_DEP_4) | instskip(NEXT) | instid1(VALU_DEP_4)
	v_fma_f64 v[2:3], v[2:3], -0.5, v[86:87]
	v_add_f64_e32 v[86:87], v[4:5], v[206:207]
	v_add_f64_e64 v[4:5], v[200:201], -v[204:205]
	v_fma_f64 v[200:201], v[52:53], s[2:3], v[0:1]
	v_fma_f64 v[204:205], v[52:53], s[10:11], v[0:1]
	v_add_f64_e32 v[0:1], v[8:9], v[10:11]
	v_add_f64_e64 v[52:53], v[8:9], -v[10:11]
	v_fma_f64 v[202:203], v[4:5], s[10:11], v[2:3]
	v_fma_f64 v[206:207], v[4:5], s[2:3], v[2:3]
	v_add_f64_e64 v[4:5], v[14:15], -v[12:13]
	v_fma_f64 v[2:3], v[0:1], -0.5, v[172:173]
	v_add_f64_e32 v[0:1], v[14:15], v[12:13]
	s_delay_alu instid0(VALU_DEP_1) | instskip(NEXT) | instid1(VALU_DEP_3)
	v_fma_f64 v[6:7], v[0:1], -0.5, v[174:175]
	v_fma_f64 v[0:1], v[4:5], s[2:3], v[2:3]
	v_fma_f64 v[4:5], v[4:5], s[10:11], v[2:3]
	s_delay_alu instid0(VALU_DEP_3)
	v_fma_f64 v[2:3], v[52:53], s[10:11], v[6:7]
	v_fma_f64 v[6:7], v[52:53], s[2:3], v[6:7]
	scratch_load_b32 v52, off, off offset:648 th:TH_LOAD_LU ; 4-byte Folded Reload
	s_wait_loadcnt 0x0
	ds_store_b128 v52, v[16:19]
	ds_store_b128 v52, v[20:23] offset:160
	ds_store_b128 v52, v[24:27] offset:320
	scratch_load_b32 v16, off, off offset:644 th:TH_LOAD_LU ; 4-byte Folded Reload
	s_wait_loadcnt 0x0
	ds_store_b128 v16, v[32:35]
	ds_store_b128 v16, v[36:39] offset:160
	ds_store_b128 v16, v[40:43] offset:320
	;; [unrolled: 5-line block ×8, first 2 shown]
	s_and_saveexec_b32 s1, s0
	s_cbranch_execz .LBB0_25
; %bb.24:
	v_add_f64_e32 v[8:9], v[172:173], v[8:9]
	v_add_f64_e32 v[14:15], v[174:175], v[14:15]
	s_delay_alu instid0(VALU_DEP_2) | instskip(SKIP_4) | instid1(VALU_DEP_1)
	v_add_f64_e32 v[10:11], v[8:9], v[10:11]
	scratch_load_b32 v8, off, off offset:584 th:TH_LOAD_LU ; 4-byte Folded Reload
	v_add_f64_e32 v[12:13], v[14:15], v[12:13]
	s_wait_loadcnt 0x0
	v_and_b32_e32 v8, 0xffff, v8
	v_lshlrev_b32_e32 v8, 4, v8
	ds_store_b128 v8, v[0:3] offset:160
	ds_store_b128 v8, v[10:13]
	ds_store_b128 v8, v[4:7] offset:320
.LBB0_25:
	s_wait_alu 0xfffe
	s_or_b32 exec_lo, exec_lo, s1
	global_wb scope:SCOPE_SE
	s_wait_dscnt 0x0
	s_barrier_signal -1
	s_barrier_wait -1
	global_inv scope:SCOPE_SE
	ds_load_b128 v[24:27], v176 offset:14400
	ds_load_b128 v[8:11], v176 offset:21600
	;; [unrolled: 1-line block ×3, first 2 shown]
	s_clause 0x2
	scratch_load_b128 v[40:43], off, off offset:716 th:TH_LOAD_LU
	scratch_load_b128 v[36:39], off, off offset:440 th:TH_LOAD_LU
	;; [unrolled: 1-line block ×3, first 2 shown]
	ds_load_b128 v[16:19], v176 offset:20160
	ds_load_b128 v[20:23], v176 offset:7200
	s_mov_b32 s2, 0x134454ff
	s_mov_b32 s3, 0xbfee6f0e
	;; [unrolled: 1-line block ×3, first 2 shown]
	s_wait_alu 0xfffe
	s_mov_b32 s16, s2
	s_mov_b32 s10, 0x4755a5e
	;; [unrolled: 1-line block ×4, first 2 shown]
	s_wait_alu 0xfffe
	s_mov_b32 s14, s10
	s_mov_b32 s12, 0x372fe950
	;; [unrolled: 1-line block ×3, first 2 shown]
	s_wait_loadcnt_dscnt 0x204
	v_mul_f64_e32 v[32:33], v[42:43], v[26:27]
	v_mul_f64_e32 v[34:35], v[42:43], v[24:25]
	s_wait_loadcnt_dscnt 0x103
	v_mul_f64_e32 v[86:87], v[38:39], v[10:11]
	v_mul_f64_e32 v[108:109], v[38:39], v[8:9]
	s_delay_alu instid0(VALU_DEP_4) | instskip(NEXT) | instid1(VALU_DEP_4)
	v_fma_f64 v[84:85], v[40:41], v[24:25], v[32:33]
	v_fma_f64 v[24:25], v[40:41], v[26:27], -v[34:35]
	ds_load_b128 v[32:35], v176 offset:5760
	v_fma_f64 v[42:43], v[36:37], v[8:9], v[86:87]
	v_fma_f64 v[44:45], v[36:37], v[10:11], -v[108:109]
	ds_load_b128 v[8:11], v176 offset:28800
	ds_load_b128 v[36:39], v176 offset:30240
	s_clause 0x1
	scratch_load_b128 v[52:55], off, off offset:488 th:TH_LOAD_LU
	scratch_load_b128 v[56:59], off, off offset:388 th:TH_LOAD_LU
	s_wait_loadcnt_dscnt 0x203
	v_mul_f64_e32 v[26:27], v[50:51], v[22:23]
	v_mul_f64_e32 v[40:41], v[50:51], v[20:21]
	s_delay_alu instid0(VALU_DEP_2) | instskip(NEXT) | instid1(VALU_DEP_2)
	v_fma_f64 v[26:27], v[48:49], v[20:21], v[26:27]
	v_fma_f64 v[40:41], v[48:49], v[22:23], -v[40:41]
	s_wait_loadcnt_dscnt 0x101
	v_mul_f64_e32 v[46:47], v[54:55], v[10:11]
	v_mul_f64_e32 v[20:21], v[54:55], v[8:9]
	s_wait_loadcnt 0x0
	v_mul_f64_e32 v[48:49], v[58:59], v[14:15]
	v_mul_f64_e32 v[50:51], v[58:59], v[12:13]
	s_delay_alu instid0(VALU_DEP_4) | instskip(NEXT) | instid1(VALU_DEP_4)
	v_fma_f64 v[46:47], v[52:53], v[8:9], v[46:47]
	v_fma_f64 v[52:53], v[52:53], v[10:11], -v[20:21]
	ds_load_b128 v[8:11], v176 offset:23040
	ds_load_b128 v[20:23], v176 offset:24480
	s_clause 0x3
	scratch_load_b128 v[58:61], off, off offset:372 th:TH_LOAD_LU
	scratch_load_b128 v[72:75], off, off offset:456 th:TH_LOAD_LU
	;; [unrolled: 1-line block ×4, first 2 shown]
	v_fma_f64 v[48:49], v[56:57], v[12:13], v[48:49]
	v_fma_f64 v[50:51], v[56:57], v[14:15], -v[50:51]
	ds_load_b128 v[12:15], v176 offset:8640
	s_wait_loadcnt_dscnt 0x302
	v_mul_f64_e32 v[54:55], v[60:61], v[10:11]
	v_mul_f64_e32 v[56:57], v[60:61], v[8:9]
	s_wait_loadcnt 0x0
	v_mul_f64_e32 v[62:63], v[70:71], v[38:39]
	s_delay_alu instid0(VALU_DEP_3) | instskip(NEXT) | instid1(VALU_DEP_3)
	v_fma_f64 v[54:55], v[58:59], v[8:9], v[54:55]
	v_fma_f64 v[56:57], v[58:59], v[10:11], -v[56:57]
	ds_load_b128 v[8:11], v176 offset:10080
	s_wait_dscnt 0x1
	v_mul_f64_e32 v[58:59], v[66:67], v[14:15]
	v_mul_f64_e32 v[60:61], v[66:67], v[12:13]
	v_fma_f64 v[62:63], v[68:69], v[36:37], v[62:63]
	s_wait_dscnt 0x0
	v_mul_f64_e32 v[66:67], v[74:75], v[8:9]
	s_delay_alu instid0(VALU_DEP_4) | instskip(SKIP_4) | instid1(VALU_DEP_4)
	v_fma_f64 v[58:59], v[64:65], v[12:13], v[58:59]
	v_mul_f64_e32 v[12:13], v[70:71], v[36:37]
	v_fma_f64 v[60:61], v[64:65], v[14:15], -v[60:61]
	v_mul_f64_e32 v[64:65], v[74:75], v[10:11]
	v_fma_f64 v[66:67], v[72:73], v[10:11], -v[66:67]
	v_fma_f64 v[68:69], v[68:69], v[38:39], -v[12:13]
	ds_load_b128 v[12:15], v176 offset:17280
	ds_load_b128 v[36:39], v176 offset:18720
	scratch_load_b128 v[108:111], off, off offset:472 th:TH_LOAD_LU ; 16-byte Folded Reload
	v_fma_f64 v[64:65], v[72:73], v[8:9], v[64:65]
	s_wait_loadcnt_dscnt 0x1
	v_mul_f64_e32 v[70:71], v[110:111], v[14:15]
	v_mul_f64_e32 v[8:9], v[110:111], v[12:13]
	scratch_load_b128 v[110:113], off, off offset:768 th:TH_LOAD_LU ; 16-byte Folded Reload
	v_fma_f64 v[70:71], v[108:109], v[12:13], v[70:71]
	v_fma_f64 v[152:153], v[108:109], v[14:15], -v[8:9]
	ds_load_b128 v[8:11], v176 offset:31680
	s_wait_loadcnt 0x0
	v_mul_f64_e32 v[72:73], v[112:113], v[22:23]
	v_mul_f64_e32 v[74:75], v[112:113], v[20:21]
	scratch_load_b128 v[112:115], off, off offset:752 th:TH_LOAD_LU ; 16-byte Folded Reload
	v_fma_f64 v[72:73], v[110:111], v[20:21], v[72:73]
	v_fma_f64 v[74:75], v[110:111], v[22:23], -v[74:75]
	ds_load_b128 v[12:15], v176 offset:11520
	ds_load_b128 v[20:23], v176 offset:12960
	scratch_load_b128 v[144:147], off, off offset:816 th:TH_LOAD_LU ; 16-byte Folded Reload
	v_add_f64_e64 v[160:161], v[70:71], -v[72:73]
	s_wait_loadcnt_dscnt 0x102
	v_mul_f64_e32 v[86:87], v[114:115], v[10:11]
	v_mul_f64_e32 v[108:109], v[114:115], v[8:9]
	s_delay_alu instid0(VALU_DEP_2) | instskip(NEXT) | instid1(VALU_DEP_2)
	v_fma_f64 v[154:155], v[112:113], v[8:9], v[86:87]
	v_fma_f64 v[156:157], v[112:113], v[10:11], -v[108:109]
	scratch_load_b128 v[112:115], off, off offset:784 th:TH_LOAD_LU ; 16-byte Folded Reload
	s_wait_loadcnt_dscnt 0x101
	v_mul_f64_e32 v[110:111], v[146:147], v[14:15]
	v_mul_f64_e32 v[8:9], v[146:147], v[12:13]
	v_add_f64_e64 v[158:159], v[64:65], -v[154:155]
	s_delay_alu instid0(VALU_DEP_3) | instskip(NEXT) | instid1(VALU_DEP_3)
	v_fma_f64 v[172:173], v[144:145], v[12:13], v[110:111]
	v_fma_f64 v[174:175], v[144:145], v[14:15], -v[8:9]
	ds_load_b128 v[8:11], v176 offset:25920
	ds_load_b128 v[12:15], v176 offset:27360
	s_clause 0x1
	scratch_load_b128 v[144:147], off, off offset:832 th:TH_LOAD_LU
	scratch_load_b128 v[148:151], off, off offset:912 th:TH_LOAD_LU
	s_wait_loadcnt 0x2
	v_mul_f64_e32 v[86:87], v[114:115], v[38:39]
	v_mul_f64_e32 v[108:109], v[114:115], v[36:37]
	s_delay_alu instid0(VALU_DEP_2) | instskip(NEXT) | instid1(VALU_DEP_2)
	v_fma_f64 v[177:178], v[112:113], v[36:37], v[86:87]
	v_fma_f64 v[184:185], v[112:113], v[38:39], -v[108:109]
	scratch_load_b128 v[112:115], off, off offset:800 th:TH_LOAD_LU ; 16-byte Folded Reload
	ds_load_b128 v[36:39], v176 offset:33120
	s_wait_loadcnt_dscnt 0x202
	v_mul_f64_e32 v[110:111], v[146:147], v[10:11]
	v_mul_f64_e32 v[86:87], v[146:147], v[8:9]
	s_delay_alu instid0(VALU_DEP_2) | instskip(NEXT) | instid1(VALU_DEP_2)
	v_fma_f64 v[186:187], v[144:145], v[8:9], v[110:111]
	v_fma_f64 v[188:189], v[144:145], v[10:11], -v[86:87]
	ds_load_b128 v[8:11], v176 offset:34560
	scratch_load_b128 v[144:147], off, off offset:896 th:TH_LOAD_LU ; 16-byte Folded Reload
	s_wait_loadcnt_dscnt 0x101
	v_mul_f64_e32 v[86:87], v[114:115], v[38:39]
	v_mul_f64_e32 v[108:109], v[114:115], v[36:37]
	s_delay_alu instid0(VALU_DEP_2) | instskip(NEXT) | instid1(VALU_DEP_2)
	v_fma_f64 v[190:191], v[112:113], v[36:37], v[86:87]
	v_fma_f64 v[192:193], v[112:113], v[38:39], -v[108:109]
	scratch_load_b128 v[112:115], off, off offset:864 th:TH_LOAD_LU ; 16-byte Folded Reload
	v_mul_f64_e32 v[110:111], v[150:151], v[22:23]
	v_mul_f64_e32 v[36:37], v[150:151], v[20:21]
	v_add_f64_e64 v[150:151], v[62:63], -v[54:55]
	s_delay_alu instid0(VALU_DEP_3) | instskip(NEXT) | instid1(VALU_DEP_3)
	v_fma_f64 v[194:195], v[148:149], v[20:21], v[110:111]
	v_fma_f64 v[196:197], v[148:149], v[22:23], -v[36:37]
	v_add_f64_e32 v[110:111], v[84:85], v[42:43]
	ds_load_b128 v[20:23], v176
	s_wait_loadcnt 0x0
	v_mul_f64_e32 v[38:39], v[114:115], v[18:19]
	v_mul_f64_e32 v[86:87], v[114:115], v[16:17]
	s_delay_alu instid0(VALU_DEP_2) | instskip(NEXT) | instid1(VALU_DEP_2)
	v_fma_f64 v[198:199], v[112:113], v[16:17], v[38:39]
	v_fma_f64 v[200:201], v[112:113], v[18:19], -v[86:87]
	ds_load_b128 v[16:19], v176 offset:1440
	scratch_load_b128 v[112:115], off, off offset:848 th:TH_LOAD_LU ; 16-byte Folded Reload
	v_mul_f64_e32 v[36:37], v[146:147], v[12:13]
	v_mul_f64_e32 v[108:109], v[146:147], v[14:15]
	s_wait_dscnt 0x0
	v_add_f64_e32 v[146:147], v[16:17], v[58:59]
	v_add_f64_e32 v[148:149], v[18:19], v[60:61]
	s_delay_alu instid0(VALU_DEP_4)
	v_fma_f64 v[204:205], v[144:145], v[14:15], -v[36:37]
	v_fma_f64 v[36:37], v[110:111], -0.5, v[20:21]
	v_add_f64_e32 v[110:111], v[24:25], v[44:45]
	v_fma_f64 v[202:203], v[144:145], v[12:13], v[108:109]
	v_add_f64_e64 v[108:109], v[40:41], -v[52:53]
	v_add_f64_e64 v[12:13], v[26:27], -v[84:85]
	;; [unrolled: 1-line block ×3, first 2 shown]
	v_add_f64_e32 v[144:145], v[60:61], v[68:69]
	v_fma_f64 v[110:111], v[110:111], -0.5, v[22:23]
	s_delay_alu instid0(VALU_DEP_2) | instskip(SKIP_4) | instid1(VALU_DEP_3)
	v_fma_f64 v[144:145], v[144:145], -0.5, v[18:19]
	s_wait_loadcnt 0x0
	v_mul_f64_e32 v[38:39], v[114:115], v[10:11]
	v_mul_f64_e32 v[86:87], v[114:115], v[8:9]
	v_add_f64_e32 v[114:115], v[50:51], v[56:57]
	v_fma_f64 v[206:207], v[112:113], v[8:9], v[38:39]
	s_delay_alu instid0(VALU_DEP_3)
	v_fma_f64 v[208:209], v[112:113], v[10:11], -v[86:87]
	v_add_f64_e64 v[10:11], v[26:27], -v[46:47]
	v_add_f64_e64 v[38:39], v[40:41], -v[24:25]
	;; [unrolled: 1-line block ×4, first 2 shown]
	v_add_f64_e32 v[112:113], v[12:13], v[14:15]
	v_fma_f64 v[12:13], v[108:109], s[2:3], v[36:37]
	v_fma_f64 v[36:37], v[108:109], s[16:17], v[36:37]
	v_fma_f64 v[114:115], v[114:115], -0.5, v[18:19]
	v_fma_f64 v[14:15], v[10:11], s[16:17], v[110:111]
	v_fma_f64 v[110:111], v[10:11], s[2:3], v[110:111]
	v_add_f64_e32 v[38:39], v[38:39], v[86:87]
	v_add_f64_e64 v[86:87], v[84:85], -v[42:43]
	v_fma_f64 v[12:13], v[8:9], s[10:11], v[12:13]
	s_wait_alu 0xfffe
	v_fma_f64 v[36:37], v[8:9], s[14:15], v[36:37]
	s_delay_alu instid0(VALU_DEP_3) | instskip(SKIP_1) | instid1(VALU_DEP_4)
	v_fma_f64 v[14:15], v[86:87], s[14:15], v[14:15]
	v_fma_f64 v[110:111], v[86:87], s[10:11], v[110:111]
	;; [unrolled: 1-line block ×3, first 2 shown]
	s_delay_alu instid0(VALU_DEP_4) | instskip(SKIP_4) | instid1(VALU_DEP_4)
	v_fma_f64 v[36:37], v[112:113], s[12:13], v[36:37]
	v_add_f64_e32 v[112:113], v[40:41], v[52:53]
	v_fma_f64 v[14:15], v[38:39], s[12:13], v[14:15]
	v_fma_f64 v[38:39], v[38:39], s[12:13], v[110:111]
	v_add_f64_e32 v[110:111], v[26:27], v[46:47]
	v_fma_f64 v[112:113], v[112:113], -0.5, v[22:23]
	v_add_f64_e32 v[22:23], v[22:23], v[40:41]
	v_add_f64_e64 v[40:41], v[24:25], -v[40:41]
	s_delay_alu instid0(VALU_DEP_4) | instskip(SKIP_4) | instid1(VALU_DEP_4)
	v_fma_f64 v[110:111], v[110:111], -0.5, v[20:21]
	v_add_f64_e32 v[20:21], v[20:21], v[26:27]
	v_add_f64_e64 v[26:27], v[84:85], -v[26:27]
	v_add_f64_e32 v[22:23], v[22:23], v[24:25]
	v_add_f64_e32 v[24:25], v[48:49], v[54:55]
	;; [unrolled: 1-line block ×4, first 2 shown]
	s_delay_alu instid0(VALU_DEP_4) | instskip(NEXT) | instid1(VALU_DEP_4)
	v_add_f64_e32 v[18:19], v[22:23], v[44:45]
	v_fma_f64 v[24:25], v[24:25], -0.5, v[16:17]
	v_add_f64_e64 v[44:45], v[44:45], -v[52:53]
	v_add_f64_e32 v[22:23], v[146:147], v[48:49]
	v_add_f64_e64 v[146:147], v[60:61], -v[50:51]
	v_fma_f64 v[84:85], v[84:85], -0.5, v[16:17]
	v_add_f64_e32 v[16:17], v[20:21], v[42:43]
	v_add_f64_e64 v[42:43], v[42:43], -v[46:47]
	v_add_f64_e32 v[20:21], v[148:149], v[50:51]
	v_add_f64_e32 v[18:19], v[18:19], v[52:53]
	;; [unrolled: 1-line block ×3, first 2 shown]
	v_add_f64_e64 v[148:149], v[68:69], -v[56:57]
	v_add_f64_e32 v[44:45], v[40:41], v[44:45]
	v_fma_f64 v[40:41], v[86:87], s[16:17], v[112:113]
	v_add_f64_e32 v[16:17], v[16:17], v[46:47]
	v_fma_f64 v[46:47], v[8:9], s[16:17], v[110:111]
	v_fma_f64 v[8:9], v[8:9], s[2:3], v[110:111]
	v_add_f64_e32 v[20:21], v[20:21], v[56:57]
	v_add_f64_e64 v[110:111], v[60:61], -v[68:69]
	v_add_f64_e64 v[60:61], v[50:51], -v[60:61]
	;; [unrolled: 1-line block ×4, first 2 shown]
	v_add_f64_e32 v[42:43], v[26:27], v[42:43]
	v_fma_f64 v[26:27], v[86:87], s[2:3], v[112:113]
	v_fma_f64 v[46:47], v[108:109], s[10:11], v[46:47]
	;; [unrolled: 1-line block ×3, first 2 shown]
	v_add_f64_e32 v[22:23], v[20:21], v[68:69]
	v_add_f64_e32 v[20:21], v[52:53], v[62:63]
	v_add_f64_e64 v[52:53], v[58:59], -v[48:49]
	v_add_f64_e64 v[68:69], v[48:49], -v[58:59]
	;; [unrolled: 1-line block ×5, first 2 shown]
	v_add_f64_e32 v[56:57], v[60:61], v[56:57]
	v_fma_f64 v[60:61], v[110:111], s[2:3], v[24:25]
	v_fma_f64 v[24:25], v[110:111], s[16:17], v[24:25]
	;; [unrolled: 1-line block ×6, first 2 shown]
	v_add_f64_e32 v[52:53], v[52:53], v[150:151]
	v_add_f64_e64 v[150:151], v[156:157], -v[74:75]
	v_fma_f64 v[86:87], v[58:59], s[2:3], v[114:115]
	v_add_f64_e32 v[54:55], v[68:69], v[62:63]
	v_fma_f64 v[108:109], v[48:49], s[16:17], v[144:145]
	v_add_f64_e32 v[62:63], v[146:147], v[148:149]
	v_fma_f64 v[60:61], v[50:51], s[10:11], v[60:61]
	v_fma_f64 v[50:51], v[50:51], s[14:15], v[24:25]
	;; [unrolled: 1-line block ×8, first 2 shown]
	v_add_f64_e64 v[144:145], v[64:65], -v[70:71]
	v_add_f64_e64 v[146:147], v[154:155], -v[72:73]
	;; [unrolled: 1-line block ×3, first 2 shown]
	v_fma_f64 v[86:87], v[48:49], s[10:11], v[86:87]
	v_fma_f64 v[114:115], v[58:59], s[14:15], v[24:25]
	v_fma_f64 v[58:59], v[58:59], s[10:11], v[108:109]
	v_fma_f64 v[24:25], v[42:43], s[12:13], v[46:47]
	v_fma_f64 v[42:43], v[44:45], s[12:13], v[10:11]
	v_fma_f64 v[44:45], v[52:53], s[12:13], v[60:61]
	v_add_f64_e32 v[60:61], v[70:71], v[72:73]
	v_fma_f64 v[84:85], v[54:55], s[12:13], v[112:113]
	v_fma_f64 v[108:109], v[54:55], s[12:13], v[110:111]
	v_add_f64_e32 v[54:55], v[152:153], v[74:75]
	ds_load_b128 v[8:11], v176 offset:2880
	v_fma_f64 v[68:69], v[48:49], s[14:15], v[68:69]
	v_fma_f64 v[48:49], v[52:53], s[12:13], v[50:51]
	v_add_f64_e32 v[52:53], v[144:145], v[146:147]
	v_fma_f64 v[50:51], v[62:63], s[12:13], v[86:87]
	v_fma_f64 v[86:87], v[56:57], s[12:13], v[114:115]
	ds_load_b128 v[112:115], v176 offset:4320
	v_fma_f64 v[110:111], v[56:57], s[12:13], v[58:59]
	v_add_f64_e64 v[58:59], v[66:67], -v[156:157]
	v_add_f64_e32 v[56:57], v[148:149], v[150:151]
	s_wait_dscnt 0x1
	v_fma_f64 v[60:61], v[60:61], -0.5, v[8:9]
	global_wb scope:SCOPE_SE
	s_wait_dscnt 0x0
	s_barrier_signal -1
	v_fma_f64 v[54:55], v[54:55], -0.5, v[10:11]
	s_barrier_wait -1
	v_fma_f64 v[46:47], v[62:63], s[12:13], v[68:69]
	v_add_f64_e64 v[62:63], v[152:153], -v[74:75]
	global_inv scope:SCOPE_SE
	v_fma_f64 v[68:69], v[58:59], s[2:3], v[60:61]
	v_fma_f64 v[60:61], v[58:59], s[16:17], v[60:61]
	;; [unrolled: 1-line block ×4, first 2 shown]
	s_delay_alu instid0(VALU_DEP_4) | instskip(NEXT) | instid1(VALU_DEP_4)
	v_fma_f64 v[68:69], v[62:63], s[10:11], v[68:69]
	v_fma_f64 v[60:61], v[62:63], s[14:15], v[60:61]
	s_delay_alu instid0(VALU_DEP_4) | instskip(NEXT) | instid1(VALU_DEP_4)
	v_fma_f64 v[146:147], v[160:161], s[14:15], v[144:145]
	v_fma_f64 v[54:55], v[160:161], s[10:11], v[54:55]
	s_delay_alu instid0(VALU_DEP_4) | instskip(NEXT) | instid1(VALU_DEP_4)
	v_fma_f64 v[144:145], v[52:53], s[12:13], v[68:69]
	v_fma_f64 v[148:149], v[52:53], s[12:13], v[60:61]
	v_add_f64_e32 v[52:53], v[64:65], v[154:155]
	v_fma_f64 v[146:147], v[56:57], s[12:13], v[146:147]
	v_fma_f64 v[150:151], v[56:57], s[12:13], v[54:55]
	v_add_f64_e32 v[54:55], v[66:67], v[156:157]
	v_add_f64_e64 v[56:57], v[70:71], -v[64:65]
	v_fma_f64 v[52:53], v[52:53], -0.5, v[8:9]
	v_add_f64_e32 v[8:9], v[8:9], v[64:65]
	v_add_f64_e64 v[64:65], v[72:73], -v[154:155]
	v_fma_f64 v[54:55], v[54:55], -0.5, v[10:11]
	v_add_f64_e32 v[10:11], v[10:11], v[66:67]
	v_fma_f64 v[60:61], v[62:63], s[16:17], v[52:53]
	v_add_f64_e32 v[8:9], v[8:9], v[70:71]
	v_fma_f64 v[52:53], v[62:63], s[2:3], v[52:53]
	v_add_f64_e64 v[62:63], v[152:153], -v[66:67]
	v_add_f64_e32 v[10:11], v[10:11], v[152:153]
	v_add_f64_e32 v[56:57], v[56:57], v[64:65]
	v_add_f64_e64 v[64:65], v[174:175], -v[184:185]
	v_add_f64_e64 v[70:71], v[194:195], -v[198:199]
	v_fma_f64 v[60:61], v[58:59], s[10:11], v[60:61]
	v_add_f64_e32 v[8:9], v[8:9], v[72:73]
	v_fma_f64 v[52:53], v[58:59], s[14:15], v[52:53]
	v_add_f64_e64 v[58:59], v[172:173], -v[177:178]
	v_add_f64_e32 v[10:11], v[10:11], v[74:75]
	v_add_f64_e64 v[72:73], v[194:195], -v[206:207]
	v_add_f64_e32 v[152:153], v[8:9], v[154:155]
	v_add_f64_e64 v[8:9], v[74:75], -v[156:157]
	v_add_f64_e64 v[74:75], v[206:207], -v[202:203]
	v_add_f64_e32 v[154:155], v[10:11], v[156:157]
	v_fma_f64 v[10:11], v[160:161], s[2:3], v[54:55]
	v_fma_f64 v[54:55], v[160:161], s[16:17], v[54:55]
	;; [unrolled: 1-line block ×4, first 2 shown]
	v_add_f64_e64 v[52:53], v[174:175], -v[192:193]
	v_add_f64_e64 v[60:61], v[172:173], -v[190:191]
	v_add_f64_e32 v[8:9], v[62:63], v[8:9]
	v_add_f64_e64 v[62:63], v[190:191], -v[186:187]
	v_add_f64_e32 v[70:71], v[70:71], v[74:75]
	v_fma_f64 v[10:11], v[158:159], s[14:15], v[10:11]
	v_fma_f64 v[54:55], v[158:159], s[10:11], v[54:55]
	s_delay_alu instid0(VALU_DEP_4) | instskip(SKIP_1) | instid1(VALU_DEP_4)
	v_add_f64_e32 v[58:59], v[58:59], v[62:63]
	v_add_f64_e64 v[62:63], v[192:193], -v[188:189]
	v_fma_f64 v[158:159], v[8:9], s[12:13], v[10:11]
	v_add_f64_e32 v[10:11], v[177:178], v[186:187]
	v_fma_f64 v[162:163], v[8:9], s[12:13], v[54:55]
	v_add_f64_e32 v[8:9], v[184:185], v[188:189]
	v_add_f64_e64 v[54:55], v[184:185], -v[188:189]
	v_add_f64_e32 v[62:63], v[64:65], v[62:63]
	v_add_f64_e64 v[64:65], v[177:178], -v[186:187]
	v_fma_f64 v[10:11], v[10:11], -0.5, v[112:113]
	v_fma_f64 v[8:9], v[8:9], -0.5, v[114:115]
	s_delay_alu instid0(VALU_DEP_2) | instskip(SKIP_1) | instid1(VALU_DEP_3)
	v_fma_f64 v[56:57], v[52:53], s[2:3], v[10:11]
	v_fma_f64 v[10:11], v[52:53], s[16:17], v[10:11]
	;; [unrolled: 1-line block ×4, first 2 shown]
	s_delay_alu instid0(VALU_DEP_4) | instskip(NEXT) | instid1(VALU_DEP_4)
	v_fma_f64 v[56:57], v[54:55], s[10:11], v[56:57]
	v_fma_f64 v[10:11], v[54:55], s[14:15], v[10:11]
	s_delay_alu instid0(VALU_DEP_4) | instskip(NEXT) | instid1(VALU_DEP_4)
	v_fma_f64 v[66:67], v[64:65], s[14:15], v[66:67]
	v_fma_f64 v[8:9], v[64:65], s[10:11], v[8:9]
	;; [unrolled: 3-line block ×3, first 2 shown]
	v_add_f64_e32 v[10:11], v[174:175], v[192:193]
	s_delay_alu instid0(VALU_DEP_4)
	v_fma_f64 v[170:171], v[62:63], s[12:13], v[8:9]
	v_add_f64_e32 v[8:9], v[172:173], v[190:191]
	v_add_f64_e32 v[58:59], v[114:115], v[174:175]
	v_fma_f64 v[166:167], v[62:63], s[12:13], v[66:67]
	v_add_f64_e64 v[62:63], v[177:178], -v[172:173]
	v_add_f64_e32 v[56:57], v[112:113], v[172:173]
	v_fma_f64 v[10:11], v[10:11], -0.5, v[114:115]
	v_fma_f64 v[8:9], v[8:9], -0.5, v[112:113]
	s_delay_alu instid0(VALU_DEP_3) | instskip(SKIP_1) | instid1(VALU_DEP_4)
	v_add_f64_e32 v[56:57], v[56:57], v[177:178]
	v_add_f64_e64 v[177:178], v[208:209], -v[204:205]
	v_fma_f64 v[68:69], v[64:65], s[2:3], v[10:11]
	v_fma_f64 v[10:11], v[64:65], s[16:17], v[10:11]
	;; [unrolled: 1-line block ×4, first 2 shown]
	v_add_f64_e32 v[54:55], v[58:59], v[184:185]
	v_add_f64_e64 v[64:65], v[186:187], -v[190:191]
	v_add_f64_e64 v[58:59], v[184:185], -v[174:175]
	v_add_f64_e32 v[56:57], v[56:57], v[186:187]
	v_fma_f64 v[10:11], v[60:61], s[10:11], v[10:11]
	v_fma_f64 v[8:9], v[52:53], s[14:15], v[8:9]
	v_add_f64_e32 v[62:63], v[62:63], v[64:65]
	v_fma_f64 v[64:65], v[52:53], s[10:11], v[66:67]
	v_add_f64_e32 v[52:53], v[54:55], v[188:189]
	v_add_f64_e64 v[54:55], v[188:189], -v[192:193]
	v_add_f64_e32 v[112:113], v[56:57], v[190:191]
	v_add_f64_e32 v[56:57], v[198:199], v[202:203]
	v_fma_f64 v[184:185], v[62:63], s[12:13], v[8:9]
	v_add_f64_e64 v[8:9], v[202:203], -v[206:207]
	v_add_f64_e32 v[114:115], v[52:53], v[192:193]
	v_add_f64_e32 v[54:55], v[58:59], v[54:55]
	v_fma_f64 v[58:59], v[60:61], s[14:15], v[68:69]
	v_add_f64_e64 v[52:53], v[198:199], -v[194:195]
	v_add_f64_e64 v[60:61], v[200:201], -v[204:205]
	;; [unrolled: 1-line block ×3, first 2 shown]
	v_fma_f64 v[172:173], v[62:63], s[12:13], v[64:65]
	v_fma_f64 v[56:57], v[56:57], -0.5, v[32:33]
	v_add_f64_e64 v[64:65], v[196:197], -v[208:209]
	v_fma_f64 v[186:187], v[54:55], s[12:13], v[10:11]
	v_fma_f64 v[174:175], v[54:55], s[12:13], v[58:59]
	v_add_f64_e64 v[10:11], v[200:201], -v[196:197]
	v_add_f64_e64 v[54:55], v[204:205], -v[208:209]
	v_add_f64_e32 v[8:9], v[52:53], v[8:9]
	v_add_f64_e32 v[52:53], v[194:195], v[206:207]
	;; [unrolled: 1-line block ×3, first 2 shown]
	v_fma_f64 v[66:67], v[64:65], s[2:3], v[56:57]
	v_fma_f64 v[56:57], v[64:65], s[16:17], v[56:57]
	v_add_f64_e32 v[10:11], v[10:11], v[54:55]
	v_add_f64_e32 v[54:55], v[196:197], v[208:209]
	v_fma_f64 v[52:53], v[52:53], -0.5, v[32:33]
	v_fma_f64 v[58:59], v[58:59], -0.5, v[34:35]
	v_fma_f64 v[66:67], v[60:61], s[10:11], v[66:67]
	v_fma_f64 v[56:57], v[60:61], s[14:15], v[56:57]
	v_add_f64_e32 v[32:33], v[32:33], v[194:195]
	v_fma_f64 v[54:55], v[54:55], -0.5, v[34:35]
	v_fma_f64 v[62:63], v[60:61], s[16:17], v[52:53]
	v_fma_f64 v[52:53], v[60:61], s[2:3], v[52:53]
	;; [unrolled: 1-line block ×3, first 2 shown]
	v_add_f64_e32 v[34:35], v[34:35], v[196:197]
	v_add_f64_e32 v[32:33], v[32:33], v[198:199]
	v_fma_f64 v[58:59], v[72:73], s[2:3], v[58:59]
	v_fma_f64 v[188:189], v[68:69], s[2:3], v[54:55]
	;; [unrolled: 1-line block ×4, first 2 shown]
	v_add_f64_e64 v[64:65], v[196:197], -v[200:201]
	v_add_f64_e32 v[34:35], v[34:35], v[200:201]
	v_fma_f64 v[54:55], v[68:69], s[16:17], v[54:55]
	v_add_f64_e32 v[32:33], v[32:33], v[202:203]
	v_fma_f64 v[58:59], v[68:69], s[10:11], v[58:59]
	v_fma_f64 v[196:197], v[70:71], s[12:13], v[66:67]
	;; [unrolled: 1-line block ×4, first 2 shown]
	v_add_f64_e32 v[60:61], v[64:65], v[177:178]
	v_fma_f64 v[64:65], v[68:69], s[14:15], v[190:191]
	v_add_f64_e32 v[34:35], v[34:35], v[204:205]
	v_fma_f64 v[54:55], v[72:73], s[10:11], v[54:55]
	;; [unrolled: 2-line block ×3, first 2 shown]
	v_fma_f64 v[192:193], v[8:9], s[12:13], v[52:53]
	scratch_load_b32 v52, off, off offset:748 th:TH_LOAD_LU ; 4-byte Folded Reload
	v_fma_f64 v[8:9], v[70:71], s[12:13], v[56:57]
	v_fma_f64 v[198:199], v[60:61], s[12:13], v[64:65]
	v_add_f64_e32 v[34:35], v[34:35], v[208:209]
	v_fma_f64 v[194:195], v[10:11], s[12:13], v[54:55]
	v_fma_f64 v[10:11], v[60:61], s[12:13], v[58:59]
	s_wait_loadcnt 0x0
	ds_store_b128 v52, v[16:19]
	ds_store_b128 v52, v[12:15] offset:480
	ds_store_b128 v52, v[24:27] offset:960
	ds_store_b128 v52, v[40:43] offset:1440
	ds_store_b128 v52, v[36:39] offset:1920
	scratch_load_b32 v12, off, off offset:744 th:TH_LOAD_LU ; 4-byte Folded Reload
	s_wait_loadcnt 0x0
	ds_store_b128 v12, v[20:23]
	ds_store_b128 v12, v[44:47] offset:480
	ds_store_b128 v12, v[84:87] offset:960
	ds_store_b128 v12, v[108:111] offset:1440
	ds_store_b128 v12, v[48:51] offset:1920
	scratch_load_b32 v12, off, off offset:740 th:TH_LOAD_LU ; 4-byte Folded Reload
	;; [unrolled: 7-line block ×4, first 2 shown]
	s_wait_loadcnt 0x0
	ds_store_b128 v12, v[32:35]
	ds_store_b128 v12, v[196:199] offset:480
	ds_store_b128 v12, v[188:191] offset:960
	;; [unrolled: 1-line block ×4, first 2 shown]
	global_wb scope:SCOPE_SE
	s_wait_dscnt 0x0
	s_barrier_signal -1
	s_barrier_wait -1
	global_inv scope:SCOPE_SE
	ds_load_b128 v[112:115], v176 offset:1440
	ds_load_b128 v[108:111], v176 offset:2880
	;; [unrolled: 1-line block ×22, first 2 shown]
	ds_load_b128 v[144:147], v176
	ds_load_b128 v[148:151], v176 offset:34080
	s_and_saveexec_b32 s1, s0
	s_cbranch_execz .LBB0_27
; %bb.26:
	ds_load_b128 v[0:3], v176 offset:23520
	ds_load_b128 v[8:11], v176 offset:11520
	;; [unrolled: 1-line block ×3, first 2 shown]
.LBB0_27:
	s_wait_alu 0xfffe
	s_or_b32 exec_lo, exec_lo, s1
	s_clause 0x9
	scratch_load_b128 v[36:39], off, off offset:612 th:TH_LOAD_LU
	scratch_load_b128 v[40:43], off, off offset:628 th:TH_LOAD_LU
	;; [unrolled: 1-line block ×10, first 2 shown]
	s_mov_b32 s2, 0xe8584caa
	s_mov_b32 s3, 0xbfebb67a
	;; [unrolled: 1-line block ×3, first 2 shown]
	s_wait_alu 0xfffe
	s_mov_b32 s10, s2
	s_wait_loadcnt_dscnt 0x905
	v_mul_f64_e32 v[32:33], v[38:39], v[218:219]
	v_mul_f64_e32 v[34:35], v[38:39], v[216:217]
	s_wait_loadcnt_dscnt 0x803
	v_mul_f64_e32 v[38:39], v[42:43], v[212:213]
	s_delay_alu instid0(VALU_DEP_3) | instskip(NEXT) | instid1(VALU_DEP_3)
	v_fma_f64 v[32:33], v[36:37], v[216:217], v[32:33]
	v_fma_f64 v[34:35], v[36:37], v[218:219], -v[34:35]
	v_mul_f64_e32 v[36:37], v[42:43], v[214:215]
	s_delay_alu instid0(VALU_DEP_4) | instskip(SKIP_2) | instid1(VALU_DEP_3)
	v_fma_f64 v[38:39], v[40:41], v[214:215], -v[38:39]
	s_wait_loadcnt 0x7
	v_mul_f64_e32 v[42:43], v[46:47], v[208:209]
	v_fma_f64 v[36:37], v[40:41], v[212:213], v[36:37]
	v_mul_f64_e32 v[40:41], v[46:47], v[210:211]
	s_delay_alu instid0(VALU_DEP_3) | instskip(SKIP_2) | instid1(VALU_DEP_3)
	v_fma_f64 v[42:43], v[44:45], v[210:211], -v[42:43]
	s_wait_loadcnt 0x6
	v_mul_f64_e32 v[46:47], v[50:51], v[204:205]
	v_fma_f64 v[40:41], v[44:45], v[208:209], v[40:41]
	v_mul_f64_e32 v[44:45], v[50:51], v[206:207]
	s_delay_alu instid0(VALU_DEP_3) | instskip(SKIP_3) | instid1(VALU_DEP_4)
	v_fma_f64 v[46:47], v[48:49], v[206:207], -v[46:47]
	s_wait_loadcnt 0x5
	v_mul_f64_e32 v[50:51], v[54:55], v[200:201]
	v_add_f64_e64 v[206:207], v[34:35], -v[38:39]
	v_fma_f64 v[44:45], v[48:49], v[204:205], v[44:45]
	v_mul_f64_e32 v[48:49], v[54:55], v[202:203]
	s_delay_alu instid0(VALU_DEP_4) | instskip(SKIP_2) | instid1(VALU_DEP_3)
	v_fma_f64 v[50:51], v[52:53], v[202:203], -v[50:51]
	s_wait_loadcnt 0x4
	v_mul_f64_e32 v[54:55], v[58:59], v[192:193]
	v_fma_f64 v[48:49], v[52:53], v[200:201], v[48:49]
	v_mul_f64_e32 v[52:53], v[58:59], v[194:195]
	s_delay_alu instid0(VALU_DEP_3) | instskip(SKIP_2) | instid1(VALU_DEP_3)
	v_fma_f64 v[54:55], v[56:57], v[194:195], -v[54:55]
	s_wait_loadcnt 0x3
	v_mul_f64_e32 v[58:59], v[62:63], v[196:197]
	v_fma_f64 v[52:53], v[56:57], v[192:193], v[52:53]
	v_mul_f64_e32 v[56:57], v[62:63], v[198:199]
	s_delay_alu instid0(VALU_DEP_3) | instskip(SKIP_2) | instid1(VALU_DEP_3)
	;; [unrolled: 6-line block ×3, first 2 shown]
	v_fma_f64 v[62:63], v[64:65], v[190:191], -v[62:63]
	s_wait_loadcnt 0x1
	v_mul_f64_e32 v[66:67], v[70:71], v[184:185]
	v_fma_f64 v[60:61], v[64:65], v[188:189], v[60:61]
	v_mul_f64_e32 v[64:65], v[70:71], v[186:187]
	s_delay_alu instid0(VALU_DEP_3) | instskip(SKIP_3) | instid1(VALU_DEP_4)
	v_fma_f64 v[66:67], v[68:69], v[186:187], -v[66:67]
	s_wait_loadcnt 0x0
	v_mul_f64_e32 v[70:71], v[74:75], v[168:169]
	v_add_f64_e32 v[188:189], v[58:59], v[62:63]
	v_fma_f64 v[64:65], v[68:69], v[184:185], v[64:65]
	v_mul_f64_e32 v[68:69], v[74:75], v[170:171]
	s_delay_alu instid0(VALU_DEP_4) | instskip(NEXT) | instid1(VALU_DEP_4)
	v_fma_f64 v[70:71], v[72:73], v[170:171], -v[70:71]
	v_fma_f64 v[188:189], v[188:189], -0.5, v[86:87]
	v_add_f64_e32 v[86:87], v[86:87], v[58:59]
	v_add_f64_e32 v[196:197], v[26:27], v[66:67]
	scratch_load_b128 v[184:187], off, off offset:1232 th:TH_LOAD_LU ; 16-byte Folded Reload
	v_add_f64_e32 v[194:195], v[24:25], v[64:65]
	v_fma_f64 v[68:69], v[72:73], v[168:169], v[68:69]
	scratch_load_b128 v[168:171], off, off offset:1168 th:TH_LOAD_LU ; 16-byte Folded Reload
	v_add_f64_e32 v[192:193], v[66:67], v[70:71]
	v_add_f64_e32 v[190:191], v[64:65], v[68:69]
	v_add_f64_e64 v[64:65], v[64:65], -v[68:69]
	s_delay_alu instid0(VALU_DEP_3) | instskip(NEXT) | instid1(VALU_DEP_3)
	v_fma_f64 v[192:193], v[192:193], -0.5, v[26:27]
	v_fma_f64 v[190:191], v[190:191], -0.5, v[24:25]
	s_wait_loadcnt 0x0
	v_mul_f64_e32 v[72:73], v[170:171], v[174:175]
	v_mul_f64_e32 v[74:75], v[170:171], v[172:173]
	s_delay_alu instid0(VALU_DEP_2) | instskip(SKIP_3) | instid1(VALU_DEP_2)
	v_fma_f64 v[72:73], v[168:169], v[172:173], v[72:73]
	scratch_load_b128 v[170:173], off, off offset:1184 th:TH_LOAD_LU ; 16-byte Folded Reload
	v_fma_f64 v[74:75], v[168:169], v[174:175], -v[74:75]
	v_add_f64_e32 v[202:203], v[20:21], v[72:73]
	v_add_f64_e32 v[204:205], v[22:23], v[74:75]
	s_wait_loadcnt 0x0
	v_mul_f64_e32 v[168:169], v[172:173], v[166:167]
	s_delay_alu instid0(VALU_DEP_1) | instskip(SKIP_1) | instid1(VALU_DEP_2)
	v_fma_f64 v[168:169], v[170:171], v[164:165], v[168:169]
	v_mul_f64_e32 v[164:165], v[172:173], v[164:165]
	v_add_f64_e32 v[24:25], v[72:73], v[168:169]
	s_delay_alu instid0(VALU_DEP_2)
	v_fma_f64 v[164:165], v[170:171], v[166:167], -v[164:165]
	scratch_load_b128 v[170:173], off, off offset:1200 th:TH_LOAD_LU ; 16-byte Folded Reload
	v_add_f64_e64 v[72:73], v[72:73], -v[168:169]
	v_fma_f64 v[198:199], v[24:25], -0.5, v[20:21]
	v_add_f64_e32 v[24:25], v[74:75], v[164:165]
	v_add_f64_e64 v[74:75], v[74:75], -v[164:165]
	s_delay_alu instid0(VALU_DEP_2) | instskip(SKIP_2) | instid1(VALU_DEP_1)
	v_fma_f64 v[200:201], v[24:25], -0.5, v[22:23]
	s_wait_loadcnt 0x0
	v_mul_f64_e32 v[166:167], v[172:173], v[162:163]
	v_fma_f64 v[166:167], v[170:171], v[160:161], v[166:167]
	v_mul_f64_e32 v[160:161], v[172:173], v[160:161]
	s_delay_alu instid0(VALU_DEP_1) | instskip(SKIP_3) | instid1(VALU_DEP_1)
	v_fma_f64 v[160:161], v[170:171], v[162:163], -v[160:161]
	scratch_load_b128 v[170:173], off, off offset:1216 th:TH_LOAD_LU ; 16-byte Folded Reload
	s_wait_loadcnt 0x0
	v_mul_f64_e32 v[162:163], v[172:173], v[158:159]
	v_fma_f64 v[162:163], v[170:171], v[156:157], v[162:163]
	v_mul_f64_e32 v[156:157], v[172:173], v[156:157]
	scratch_load_b128 v[172:175], off, off offset:1248 th:TH_LOAD_LU ; 16-byte Folded Reload
	global_wb scope:SCOPE_SE
	s_wait_loadcnt_dscnt 0x0
	s_barrier_signal -1
	s_barrier_wait -1
	global_inv scope:SCOPE_SE
	v_add_f64_e64 v[216:217], v[166:167], -v[162:163]
	v_fma_f64 v[170:171], v[170:171], v[158:159], -v[156:157]
	s_delay_alu instid0(VALU_DEP_1) | instskip(SKIP_3) | instid1(VALU_DEP_3)
	v_add_f64_e64 v[214:215], v[160:161], -v[170:171]
	v_mul_f64_e32 v[156:157], v[174:175], v[154:155]
	v_mul_f64_e32 v[158:159], v[174:175], v[152:153]
	v_add_f64_e32 v[174:175], v[34:35], v[38:39]
	v_fma_f64 v[152:153], v[172:173], v[152:153], v[156:157]
	s_delay_alu instid0(VALU_DEP_3)
	v_fma_f64 v[154:155], v[172:173], v[154:155], -v[158:159]
	v_mul_f64_e32 v[156:157], v[186:187], v[150:151]
	v_mul_f64_e32 v[158:159], v[186:187], v[148:149]
	v_add_f64_e32 v[172:173], v[32:33], v[36:37]
	v_add_f64_e32 v[186:187], v[56:57], v[60:61]
	;; [unrolled: 1-line block ×4, first 2 shown]
	v_fma_f64 v[177:178], v[184:185], v[148:149], v[156:157]
	v_fma_f64 v[184:185], v[184:185], v[150:151], -v[158:159]
	v_add_f64_e32 v[150:151], v[42:43], v[46:47]
	v_add_f64_e32 v[156:157], v[144:145], v[32:33]
	;; [unrolled: 1-line block ×3, first 2 shown]
	v_fma_f64 v[144:145], v[172:173], -0.5, v[144:145]
	v_fma_f64 v[146:147], v[174:175], -0.5, v[146:147]
	v_add_f64_e32 v[172:173], v[112:113], v[40:41]
	v_add_f64_e32 v[174:175], v[114:115], v[42:43]
	;; [unrolled: 1-line block ×3, first 2 shown]
	v_fma_f64 v[186:187], v[186:187], -0.5, v[84:85]
	v_add_f64_e32 v[84:85], v[84:85], v[56:57]
	v_add_f64_e64 v[220:221], v[152:153], -v[177:178]
	v_add_f64_e64 v[218:219], v[154:155], -v[184:185]
	v_fma_f64 v[114:115], v[150:151], -0.5, v[114:115]
	v_add_f64_e32 v[150:151], v[50:51], v[54:55]
	v_add_f64_e32 v[22:23], v[158:159], v[38:39]
	v_add_f64_e64 v[158:159], v[42:43], -v[46:47]
	v_add_f64_e32 v[20:21], v[156:157], v[36:37]
	v_add_f64_e32 v[24:25], v[172:173], v[44:45]
	;; [unrolled: 1-line block ×3, first 2 shown]
	v_add_f64_e64 v[172:173], v[40:41], -v[44:45]
	v_add_f64_e32 v[44:45], v[166:167], v[162:163]
	v_add_f64_e32 v[46:47], v[160:161], v[170:171]
	v_add_f64_e64 v[156:157], v[32:33], -v[36:37]
	v_add_f64_e32 v[38:39], v[86:87], v[62:63]
	v_add_f64_e32 v[42:43], v[196:197], v[70:71]
	;; [unrolled: 1-line block ×4, first 2 shown]
	v_fma_f64 v[112:113], v[148:149], -0.5, v[112:113]
	v_add_f64_e32 v[148:149], v[48:49], v[52:53]
	v_add_f64_e64 v[174:175], v[50:51], -v[54:55]
	v_add_f64_e32 v[36:37], v[84:85], v[60:61]
	v_add_f64_e64 v[60:61], v[56:57], -v[60:61]
	v_fma_f64 v[150:151], v[150:151], -0.5, v[110:111]
	v_add_f64_e32 v[110:111], v[110:111], v[50:51]
	s_wait_alu 0xfffe
	v_fma_f64 v[50:51], v[172:173], s[10:11], v[114:115]
	v_fma_f64 v[68:69], v[44:45], -0.5, v[16:17]
	v_fma_f64 v[44:45], v[206:207], s[10:11], v[144:145]
	v_fma_f64 v[148:149], v[148:149], -0.5, v[108:109]
	v_add_f64_e32 v[108:109], v[108:109], v[48:49]
	v_add_f64_e32 v[34:35], v[110:111], v[54:55]
	v_add_f64_e64 v[110:111], v[58:59], -v[62:63]
	v_add_f64_e64 v[62:63], v[66:67], -v[70:71]
	v_add_f64_e32 v[66:67], v[16:17], v[166:167]
	v_fma_f64 v[70:71], v[46:47], -0.5, v[18:19]
	v_add_f64_e32 v[16:17], v[152:153], v[177:178]
	v_add_f64_e32 v[18:19], v[154:155], v[184:185]
	v_fma_f64 v[46:47], v[156:157], s[2:3], v[146:147]
	v_fma_f64 v[54:55], v[172:173], s[2:3], v[114:115]
	v_fma_f64 v[114:115], v[60:61], s[2:3], v[188:189]
	v_fma_f64 v[152:153], v[74:75], s[2:3], v[198:199]
	v_fma_f64 v[154:155], v[72:73], s[10:11], v[200:201]
	v_add_f64_e32 v[172:173], v[210:211], v[177:178]
	v_fma_f64 v[56:57], v[174:175], s[2:3], v[148:149]
	v_add_f64_e32 v[32:33], v[108:109], v[52:53]
	v_add_f64_e64 v[108:109], v[48:49], -v[52:53]
	v_fma_f64 v[48:49], v[158:159], s[2:3], v[112:113]
	v_fma_f64 v[52:53], v[158:159], s[10:11], v[112:113]
	;; [unrolled: 1-line block ×4, first 2 shown]
	v_add_f64_e32 v[174:175], v[212:213], v[184:185]
	v_fma_f64 v[112:113], v[110:111], s[10:11], v[186:187]
	v_fma_f64 v[148:149], v[62:63], s[10:11], v[190:191]
	v_add_f64_e32 v[160:161], v[66:67], v[162:163]
	v_add_f64_e32 v[162:163], v[194:195], v[170:171]
	v_fma_f64 v[196:197], v[16:17], -0.5, v[12:13]
	v_fma_f64 v[208:209], v[18:19], -0.5, v[14:15]
	v_fma_f64 v[16:17], v[206:207], s[2:3], v[144:145]
	v_fma_f64 v[18:19], v[156:157], s[10:11], v[146:147]
	;; [unrolled: 1-line block ×4, first 2 shown]
	v_add_f64_e32 v[12:13], v[202:203], v[168:169]
	v_add_f64_e32 v[14:15], v[204:205], v[164:165]
	ds_store_b128 v176, v[20:23]
	ds_store_b128 v176, v[16:19] offset:2400
	ds_store_b128 v176, v[44:47] offset:4800
	scratch_load_b32 v16, off, off offset:1264 th:TH_LOAD_LU ; 4-byte Folded Reload
	v_fma_f64 v[58:59], v[108:109], s[10:11], v[150:151]
	v_fma_f64 v[86:87], v[108:109], s[2:3], v[150:151]
	;; [unrolled: 1-line block ×14, first 2 shown]
	s_wait_loadcnt 0x0
	ds_store_b128 v16, v[24:27]
	ds_store_b128 v16, v[48:51] offset:2400
	ds_store_b128 v16, v[52:55] offset:4800
	;; [unrolled: 1-line block ×5, first 2 shown]
	scratch_load_b32 v16, off, off offset:1268 th:TH_LOAD_LU ; 4-byte Folded Reload
	s_wait_loadcnt 0x0
	ds_store_b128 v16, v[36:39]
	ds_store_b128 v16, v[108:111] offset:2400
	ds_store_b128 v16, v[112:115] offset:4800
	scratch_load_b32 v16, off, off offset:1272 th:TH_LOAD_LU ; 4-byte Folded Reload
	s_wait_loadcnt 0x0
	ds_store_b128 v16, v[40:43] offset:14400
	ds_store_b128 v16, v[144:147] offset:16800
	;; [unrolled: 1-line block ×3, first 2 shown]
	scratch_load_b32 v16, off, off offset:1276 th:TH_LOAD_LU ; 4-byte Folded Reload
	s_wait_loadcnt 0x0
	ds_store_b128 v16, v[12:15] offset:21600
	ds_store_b128 v16, v[152:155] offset:24000
	ds_store_b128 v16, v[156:159] offset:26400
	scratch_load_b32 v12, off, off offset:1280 th:TH_LOAD_LU ; 4-byte Folded Reload
	s_wait_loadcnt 0x0
	ds_store_b128 v12, v[160:163]
	ds_store_b128 v12, v[164:167] offset:2400
	ds_store_b128 v12, v[168:171] offset:4800
	scratch_load_b32 v12, off, off offset:1288 th:TH_LOAD_LU ; 4-byte Folded Reload
	s_wait_loadcnt 0x0
	ds_store_b128 v12, v[184:187] offset:31200
	ds_store_b128 v12, v[172:175] offset:28800
	;; [unrolled: 1-line block ×3, first 2 shown]
	s_and_saveexec_b32 s1, s0
	s_cbranch_execz .LBB0_29
; %bb.28:
	s_clause 0x1
	scratch_load_b128 v[20:23], off, off offset:1360 th:TH_LOAD_LU
	scratch_load_b128 v[24:27], off, off offset:1376 th:TH_LOAD_LU
	s_wait_loadcnt 0x1
	v_mul_f64_e32 v[12:13], v[22:23], v[0:1]
	s_wait_loadcnt 0x0
	v_mul_f64_e32 v[14:15], v[26:27], v[4:5]
	v_mul_f64_e32 v[16:17], v[22:23], v[2:3]
	;; [unrolled: 1-line block ×3, first 2 shown]
	s_delay_alu instid0(VALU_DEP_4) | instskip(NEXT) | instid1(VALU_DEP_4)
	v_fma_f64 v[2:3], v[20:21], v[2:3], -v[12:13]
	v_fma_f64 v[6:7], v[24:25], v[6:7], -v[14:15]
	s_delay_alu instid0(VALU_DEP_4) | instskip(NEXT) | instid1(VALU_DEP_4)
	v_fma_f64 v[0:1], v[20:21], v[0:1], v[16:17]
	v_fma_f64 v[4:5], v[24:25], v[4:5], v[18:19]
	s_delay_alu instid0(VALU_DEP_4) | instskip(NEXT) | instid1(VALU_DEP_4)
	v_add_f64_e32 v[18:19], v[10:11], v[2:3]
	v_add_f64_e32 v[12:13], v[2:3], v[6:7]
	v_add_f64_e64 v[20:21], v[2:3], -v[6:7]
	s_delay_alu instid0(VALU_DEP_4)
	v_add_f64_e32 v[14:15], v[0:1], v[4:5]
	v_add_f64_e64 v[16:17], v[0:1], -v[4:5]
	v_add_f64_e32 v[0:1], v[8:9], v[0:1]
	v_add_f64_e32 v[2:3], v[18:19], v[6:7]
	v_fma_f64 v[10:11], v[12:13], -0.5, v[10:11]
	scratch_load_b32 v12, off, off offset:1284 th:TH_LOAD_LU ; 4-byte Folded Reload
	v_fma_f64 v[8:9], v[14:15], -0.5, v[8:9]
	v_add_f64_e32 v[0:1], v[0:1], v[4:5]
	v_fma_f64 v[6:7], v[16:17], s[10:11], v[10:11]
	v_fma_f64 v[10:11], v[16:17], s[2:3], v[10:11]
	s_delay_alu instid0(VALU_DEP_4)
	v_fma_f64 v[4:5], v[20:21], s[2:3], v[8:9]
	v_fma_f64 v[8:9], v[20:21], s[10:11], v[8:9]
	s_wait_loadcnt 0x0
	v_lshlrev_b32_e32 v12, 4, v12
	ds_store_b128 v12, v[4:7] offset:31200
	ds_store_b128 v12, v[0:3] offset:28800
	;; [unrolled: 1-line block ×3, first 2 shown]
.LBB0_29:
	s_wait_alu 0xfffe
	s_or_b32 exec_lo, exec_lo, s1
	global_wb scope:SCOPE_SE
	s_wait_dscnt 0x0
	s_barrier_signal -1
	s_barrier_wait -1
	global_inv scope:SCOPE_SE
	ds_load_b128 v[4:7], v176 offset:14400
	ds_load_b128 v[8:11], v176 offset:21600
	;; [unrolled: 1-line block ×6, first 2 shown]
	s_mov_b32 s12, 0x134454ff
	s_mov_b32 s13, 0xbfee6f0e
	;; [unrolled: 1-line block ×3, first 2 shown]
	s_wait_alu 0xfffe
	s_mov_b32 s14, s12
	s_mov_b32 s2, 0x4755a5e
	;; [unrolled: 1-line block ×4, first 2 shown]
	s_wait_alu 0xfffe
	s_mov_b32 s10, s2
	s_mov_b32 s0, 0x372fe950
	;; [unrolled: 1-line block ×3, first 2 shown]
	s_wait_dscnt 0x5
	v_mul_f64_e32 v[58:59], v[30:31], v[6:7]
	v_mul_f64_e32 v[60:61], v[30:31], v[4:5]
	ds_load_b128 v[30:33], v176 offset:20160
	ds_load_b128 v[34:37], v176 offset:23040
	;; [unrolled: 1-line block ×3, first 2 shown]
	s_clause 0x2
	scratch_load_b128 v[156:159], off, off offset:1324 th:TH_LOAD_LU
	scratch_load_b128 v[162:165], off, off offset:1340 th:TH_LOAD_LU
	;; [unrolled: 1-line block ×3, first 2 shown]
	s_wait_dscnt 0x7
	v_mul_f64_e32 v[62:63], v[78:79], v[10:11]
	v_mul_f64_e32 v[64:65], v[78:79], v[8:9]
	s_wait_dscnt 0x5
	v_mul_f64_e32 v[70:71], v[94:95], v[18:19]
	v_mul_f64_e32 v[72:73], v[94:95], v[16:17]
	ds_load_b128 v[38:41], v176 offset:30240
	ds_load_b128 v[54:57], v176 offset:31680
	;; [unrolled: 1-line block ×6, first 2 shown]
	s_wait_dscnt 0x7
	v_mul_f64_e32 v[112:113], v[98:99], v[36:37]
	v_mul_f64_e32 v[98:99], v[98:99], v[34:35]
	s_wait_dscnt 0x5
	v_mul_f64_e32 v[114:115], v[102:103], v[40:41]
	v_mul_f64_e32 v[102:103], v[102:103], v[38:39]
	v_fma_f64 v[144:145], v[28:29], v[4:5], v[58:59]
	v_fma_f64 v[28:29], v[28:29], v[6:7], -v[60:61]
	v_fma_f64 v[62:63], v[76:77], v[8:9], v[62:63]
	v_fma_f64 v[64:65], v[76:77], v[10:11], -v[64:65]
	ds_load_b128 v[74:77], v176 offset:18720
	s_wait_dscnt 0x3
	v_mul_f64_e32 v[8:9], v[182:183], v[48:49]
	v_mul_f64_e32 v[10:11], v[182:183], v[46:47]
	v_fma_f64 v[70:71], v[92:93], v[16:17], v[70:71]
	v_fma_f64 v[72:73], v[92:93], v[18:19], -v[72:73]
	ds_load_b128 v[16:19], v176 offset:33120
	v_mul_f64_e32 v[92:93], v[90:91], v[56:57]
	v_mul_f64_e32 v[90:91], v[90:91], v[54:55]
	v_fma_f64 v[112:113], v[96:97], v[34:35], v[112:113]
	v_fma_f64 v[96:97], v[96:97], v[36:37], -v[98:99]
	s_wait_dscnt 0x1
	v_mul_f64_e32 v[98:99], v[118:119], v[76:77]
	v_fma_f64 v[6:7], v[100:101], v[38:39], v[114:115]
	v_fma_f64 v[4:5], v[100:101], v[40:41], -v[102:103]
	v_mul_f64_e32 v[100:101], v[118:119], v[74:75]
	v_fma_f64 v[46:47], v[180:181], v[46:47], v[8:9]
	v_fma_f64 v[48:49], v[180:181], v[48:49], -v[10:11]
	v_fma_f64 v[10:11], v[88:89], v[54:55], v[92:93]
	v_fma_f64 v[8:9], v[88:89], v[56:57], -v[90:91]
	v_fma_f64 v[74:75], v[116:117], v[74:75], v[98:99]
	v_add_f64_e64 v[166:167], v[96:97], -v[4:5]
	v_fma_f64 v[76:77], v[116:117], v[76:77], -v[100:101]
	s_wait_loadcnt 0x2
	v_mul_f64_e32 v[78:79], v[158:159], v[22:23]
	v_mul_f64_e32 v[94:95], v[158:159], v[20:21]
	scratch_load_b128 v[158:161], off, off offset:1308 th:TH_LOAD_LU ; 16-byte Folded Reload
	s_wait_loadcnt 0x1
	v_mul_f64_e32 v[66:67], v[154:155], v[14:15]
	v_mul_f64_e32 v[68:69], v[154:155], v[12:13]
	;; [unrolled: 1-line block ×4, first 2 shown]
	v_fma_f64 v[78:79], v[156:157], v[20:21], v[78:79]
	v_fma_f64 v[94:95], v[156:157], v[22:23], -v[94:95]
	ds_load_b128 v[20:23], v176 offset:12960
	v_fma_f64 v[150:151], v[152:153], v[12:13], v[66:67]
	v_fma_f64 v[152:153], v[152:153], v[14:15], -v[68:69]
	ds_load_b128 v[12:15], v176 offset:25920
	v_mul_f64_e32 v[154:155], v[82:83], v[52:53]
	v_mul_f64_e32 v[82:83], v[82:83], v[50:51]
	;; [unrolled: 1-line block ×4, first 2 shown]
	v_fma_f64 v[108:109], v[162:163], v[24:25], v[108:109]
	v_fma_f64 v[110:111], v[162:163], v[26:27], -v[110:111]
	ds_load_b128 v[24:27], v176
	ds_load_b128 v[58:61], v176 offset:1440
	ds_load_b128 v[34:37], v176 offset:27360
	;; [unrolled: 1-line block ×3, first 2 shown]
	v_mul_f64_e32 v[162:163], v[134:135], v[32:33]
	v_mul_f64_e32 v[134:135], v[134:135], v[30:31]
	s_wait_dscnt 0x4
	v_mul_f64_e32 v[102:103], v[130:131], v[14:15]
	v_mul_f64_e32 v[114:115], v[130:131], v[12:13]
	s_wait_dscnt 0x0
	v_mul_f64_e32 v[88:89], v[106:107], v[66:67]
	v_add_f64_e32 v[54:55], v[150:151], v[70:71]
	v_add_f64_e32 v[90:91], v[24:25], v[150:151]
	;; [unrolled: 1-line block ×3, first 2 shown]
	v_fma_f64 v[50:51], v[80:81], v[50:51], v[154:155]
	v_fma_f64 v[52:53], v[80:81], v[52:53], -v[82:83]
	v_mul_f64_e32 v[80:81], v[122:123], v[36:37]
	v_mul_f64_e32 v[82:83], v[122:123], v[34:35]
	;; [unrolled: 1-line block ×3, first 2 shown]
	v_fma_f64 v[56:57], v[140:141], v[84:85], v[156:157]
	v_fma_f64 v[84:85], v[140:141], v[86:87], -v[142:143]
	v_add_f64_e32 v[86:87], v[152:153], v[72:73]
	v_add_f64_e64 v[100:101], v[152:153], -v[72:73]
	v_add_f64_e64 v[140:141], v[78:79], -v[108:109]
	;; [unrolled: 1-line block ×3, first 2 shown]
	v_fma_f64 v[92:93], v[128:129], v[12:13], v[102:103]
	v_add_f64_e64 v[102:103], v[150:151], -v[70:71]
	v_fma_f64 v[114:115], v[128:129], v[14:15], -v[114:115]
	v_fma_f64 v[128:129], v[132:133], v[30:31], v[162:163]
	v_add_f64_e64 v[30:31], v[144:145], -v[62:63]
	v_fma_f64 v[132:133], v[132:133], v[32:33], -v[134:135]
	v_add_f64_e32 v[32:33], v[110:111], v[96:97]
	v_add_f64_e32 v[134:135], v[58:59], v[78:79]
	v_add_f64_e32 v[90:91], v[90:91], v[144:145]
	v_add_f64_e64 v[168:169], v[50:51], -v[10:11]
	v_add_f64_e32 v[156:157], v[48:49], v[52:53]
	v_add_f64_e64 v[177:178], v[8:9], -v[52:53]
	v_add_f64_e32 v[140:141], v[140:141], v[142:143]
	v_add_f64_e32 v[142:143], v[74:75], v[92:93]
	v_fma_f64 v[32:33], v[32:33], -0.5, v[60:61]
	s_wait_loadcnt 0x0
	v_mul_f64_e32 v[146:147], v[160:161], v[44:45]
	v_mul_f64_e32 v[148:149], v[160:161], v[42:43]
	;; [unrolled: 1-line block ×4, first 2 shown]
	s_delay_alu instid0(VALU_DEP_4) | instskip(NEXT) | instid1(VALU_DEP_4)
	v_fma_f64 v[118:119], v[158:159], v[42:43], v[146:147]
	v_fma_f64 v[130:131], v[158:159], v[44:45], -v[148:149]
	v_mul_f64_e32 v[146:147], v[126:127], v[18:19]
	v_mul_f64_e32 v[126:127], v[126:127], v[16:17]
	v_add_f64_e32 v[148:149], v[144:145], v[62:63]
	v_add_f64_e32 v[158:159], v[28:29], v[64:65]
	ds_load_b128 v[38:41], v176 offset:2880
	ds_load_b128 v[42:45], v176 offset:4320
	v_add_f64_e32 v[154:155], v[118:119], v[10:11]
	v_add_f64_e64 v[174:175], v[130:131], -v[48:49]
	v_fma_f64 v[14:15], v[124:125], v[16:17], v[146:147]
	v_fma_f64 v[12:13], v[124:125], v[18:19], -v[126:127]
	v_fma_f64 v[106:107], v[148:149], -0.5, v[24:25]
	v_fma_f64 v[116:117], v[158:159], -0.5, v[26:27]
	v_fma_f64 v[126:127], v[136:137], v[22:23], -v[138:139]
	v_fma_f64 v[16:17], v[120:121], v[34:35], v[80:81]
	v_add_f64_e32 v[18:19], v[108:109], v[112:113]
	v_fma_f64 v[80:81], v[120:121], v[36:37], -v[82:83]
	v_add_f64_e64 v[22:23], v[28:29], -v[64:65]
	v_fma_f64 v[24:25], v[54:55], -0.5, v[24:25]
	v_fma_f64 v[26:27], v[86:87], -0.5, v[26:27]
	v_fma_f64 v[82:83], v[104:105], v[66:67], v[122:123]
	v_add_f64_e32 v[34:35], v[94:95], v[4:5]
	v_fma_f64 v[86:87], v[104:105], v[68:69], -v[88:89]
	v_add_f64_e64 v[36:37], v[150:151], -v[144:145]
	v_add_f64_e64 v[54:55], v[70:71], -v[62:63]
	;; [unrolled: 1-line block ×4, first 2 shown]
	v_fma_f64 v[124:125], v[136:137], v[20:21], v[160:161]
	v_add_f64_e32 v[20:21], v[78:79], v[6:7]
	v_add_f64_e64 v[66:67], v[144:145], -v[150:151]
	v_add_f64_e64 v[68:69], v[62:63], -v[70:71]
	v_add_f64_e64 v[120:121], v[28:29], -v[152:153]
	v_add_f64_e64 v[122:123], v[64:65], -v[72:73]
	v_add_f64_e64 v[136:137], v[94:95], -v[4:5]
	v_add_f64_e32 v[28:29], v[98:99], v[28:29]
	v_add_f64_e32 v[144:145], v[46:47], v[50:51]
	;; [unrolled: 1-line block ×4, first 2 shown]
	v_add_f64_e64 v[160:161], v[108:109], -v[112:113]
	v_add_f64_e32 v[62:63], v[90:91], v[62:63]
	v_add_f64_e64 v[98:99], v[108:109], -v[78:79]
	v_add_f64_e64 v[150:151], v[112:113], -v[6:7]
	;; [unrolled: 1-line block ×3, first 2 shown]
	v_add_f64_e32 v[108:109], v[134:135], v[108:109]
	v_add_f64_e64 v[138:139], v[110:111], -v[96:97]
	v_add_f64_e64 v[134:135], v[118:119], -v[46:47]
	;; [unrolled: 1-line block ×3, first 2 shown]
	v_fma_f64 v[146:147], v[100:101], s[12:13], v[106:107]
	v_fma_f64 v[148:149], v[102:103], s[14:15], v[116:117]
	;; [unrolled: 1-line block ×4, first 2 shown]
	v_fma_f64 v[18:19], v[18:19], -0.5, v[58:59]
	v_fma_f64 v[162:163], v[22:23], s[14:15], v[24:25]
	v_fma_f64 v[24:25], v[22:23], s[12:13], v[24:25]
	;; [unrolled: 1-line block ×4, first 2 shown]
	v_fma_f64 v[34:35], v[34:35], -0.5, v[60:61]
	v_add_f64_e64 v[60:61], v[4:5], -v[96:97]
	v_add_f64_e32 v[36:37], v[36:37], v[54:55]
	s_wait_dscnt 0x1
	v_add_f64_e32 v[54:55], v[38:39], v[118:119]
	v_add_f64_e32 v[88:89], v[88:89], v[104:105]
	;; [unrolled: 1-line block ×3, first 2 shown]
	v_fma_f64 v[20:21], v[20:21], -0.5, v[58:59]
	v_add_f64_e64 v[58:59], v[94:95], -v[110:111]
	v_add_f64_e64 v[94:95], v[110:111], -v[94:95]
	v_add_f64_e32 v[66:67], v[66:67], v[68:69]
	v_add_f64_e64 v[68:69], v[130:131], -v[8:9]
	v_add_f64_e32 v[120:121], v[120:121], v[122:123]
	v_add_f64_e64 v[122:123], v[48:49], -v[52:53]
	v_add_f64_e32 v[28:29], v[28:29], v[64:65]
	v_add_f64_e64 v[64:65], v[46:47], -v[118:119]
	v_fma_f64 v[144:145], v[144:145], -0.5, v[38:39]
	v_fma_f64 v[38:39], v[154:155], -0.5, v[38:39]
	;; [unrolled: 1-line block ×4, first 2 shown]
	v_add_f64_e32 v[110:111], v[152:153], v[110:111]
	v_add_f64_e32 v[152:153], v[76:77], v[114:115]
	v_add_f64_e64 v[130:131], v[48:49], -v[130:131]
	v_add_f64_e64 v[118:119], v[118:119], -v[10:11]
	v_add_f64_e32 v[98:99], v[98:99], v[150:151]
	v_add_f64_e32 v[150:151], v[56:57], v[14:15]
	;; [unrolled: 1-line block ×3, first 2 shown]
	v_fma_f64 v[112:113], v[78:79], s[14:15], v[32:33]
	v_fma_f64 v[146:147], v[22:23], s[2:3], v[146:147]
	s_wait_alu 0xfffe
	v_fma_f64 v[148:149], v[30:31], s[10:11], v[148:149]
	v_fma_f64 v[106:107], v[22:23], s[10:11], v[106:107]
	;; [unrolled: 1-line block ×3, first 2 shown]
	v_add_f64_e64 v[116:117], v[46:47], -v[50:51]
	v_fma_f64 v[156:157], v[136:137], s[12:13], v[18:19]
	v_fma_f64 v[158:159], v[136:137], s[14:15], v[18:19]
	;; [unrolled: 1-line block ×6, first 2 shown]
	v_add_f64_e32 v[18:19], v[62:63], v[70:71]
	v_fma_f64 v[62:63], v[160:161], s[12:13], v[34:35]
	v_fma_f64 v[70:71], v[160:161], s[14:15], v[34:35]
	v_add_f64_e32 v[46:47], v[54:55], v[46:47]
	v_add_f64_e32 v[54:55], v[84:85], v[12:13]
	;; [unrolled: 1-line block ×3, first 2 shown]
	s_wait_dscnt 0x0
	v_add_f64_e32 v[104:105], v[42:43], v[56:57]
	v_fma_f64 v[179:180], v[78:79], s[12:13], v[32:33]
	v_fma_f64 v[170:171], v[138:139], s[14:15], v[20:21]
	;; [unrolled: 1-line block ×3, first 2 shown]
	v_add_f64_e32 v[58:59], v[58:59], v[60:61]
	v_add_f64_e32 v[90:91], v[134:135], v[90:91]
	v_add_f64_e64 v[134:135], v[56:57], -v[74:75]
	v_add_f64_e32 v[20:21], v[28:29], v[72:73]
	v_add_f64_e32 v[94:95], v[94:95], v[166:167]
	v_fma_f64 v[72:73], v[68:69], s[12:13], v[144:145]
	v_fma_f64 v[144:145], v[68:69], s[14:15], v[144:145]
	v_add_f64_e64 v[166:167], v[126:127], -v[86:87]
	v_add_f64_e32 v[64:65], v[64:65], v[168:169]
	v_add_f64_e32 v[96:97], v[110:111], v[96:97]
	v_fma_f64 v[110:111], v[160:161], s[10:11], v[112:113]
	v_fma_f64 v[22:23], v[36:37], s[0:1], v[146:147]
	;; [unrolled: 1-line block ×10, first 2 shown]
	v_fma_f64 v[100:101], v[142:143], -0.5, v[42:43]
	v_fma_f64 v[36:37], v[120:121], s[0:1], v[102:103]
	v_add_f64_e64 v[102:103], v[84:85], -v[12:13]
	v_fma_f64 v[142:143], v[152:153], -0.5, v[44:45]
	v_fma_f64 v[62:63], v[78:79], s[10:11], v[62:63]
	v_add_f64_e32 v[152:153], v[128:129], v[16:17]
	v_fma_f64 v[70:71], v[78:79], s[2:3], v[70:71]
	v_add_f64_e32 v[158:159], v[126:127], v[86:87]
	v_add_f64_e32 v[78:79], v[104:105], v[74:75]
	;; [unrolled: 1-line block ×5, first 2 shown]
	v_fma_f64 v[106:107], v[118:119], s[14:15], v[154:155]
	v_fma_f64 v[146:147], v[118:119], s[12:13], v[154:155]
	;; [unrolled: 1-line block ×5, first 2 shown]
	v_add_f64_e64 v[66:67], v[52:53], -v[8:9]
	v_fma_f64 v[40:41], v[116:117], s[14:15], v[40:41]
	v_add_f64_e64 v[120:121], v[76:77], -v[114:115]
	v_fma_f64 v[42:43], v[150:151], -0.5, v[42:43]
	v_fma_f64 v[54:55], v[54:55], -0.5, v[44:45]
	v_add_f64_e32 v[44:45], v[44:45], v[84:85]
	v_add_f64_e64 v[150:151], v[56:57], -v[14:15]
	v_add_f64_e64 v[112:113], v[74:75], -v[92:93]
	v_fma_f64 v[60:61], v[160:161], s[2:3], v[179:180]
	v_add_f64_e64 v[160:161], v[14:15], -v[92:93]
	v_add_f64_e32 v[164:165], v[0:1], v[124:125]
	v_fma_f64 v[72:73], v[122:123], s[2:3], v[72:73]
	v_fma_f64 v[122:123], v[122:123], s[10:11], v[144:145]
	v_add_f64_e32 v[144:145], v[48:49], v[52:53]
	v_add_f64_e64 v[52:53], v[74:75], -v[56:57]
	v_add_f64_e64 v[56:57], v[92:93], -v[14:15]
	v_fma_f64 v[88:89], v[68:69], s[2:3], v[88:89]
	v_fma_f64 v[68:69], v[68:69], s[10:11], v[38:39]
	v_add_f64_e64 v[74:75], v[84:85], -v[76:77]
	v_fma_f64 v[156:157], v[136:137], s[2:3], v[170:171]
	v_fma_f64 v[136:137], v[136:137], s[10:11], v[172:173]
	v_add_f64_e32 v[162:163], v[174:175], v[177:178]
	v_fma_f64 v[38:39], v[102:103], s[12:13], v[100:101]
	v_fma_f64 v[152:153], v[152:153], -0.5, v[0:1]
	v_add_f64_e32 v[78:79], v[78:79], v[92:93]
	v_add_f64_e64 v[92:93], v[132:133], -v[80:81]
	v_fma_f64 v[0:1], v[46:47], -0.5, v[0:1]
	v_fma_f64 v[46:47], v[50:51], -0.5, v[2:3]
	;; [unrolled: 1-line block ×3, first 2 shown]
	v_add_f64_e32 v[2:3], v[2:3], v[126:127]
	v_fma_f64 v[106:107], v[116:117], s[10:11], v[106:107]
	v_fma_f64 v[116:117], v[116:117], s[2:3], v[146:147]
	;; [unrolled: 1-line block ×3, first 2 shown]
	v_add_f64_e32 v[130:131], v[130:131], v[66:67]
	v_fma_f64 v[118:119], v[118:119], s[2:3], v[40:41]
	v_fma_f64 v[40:41], v[102:103], s[14:15], v[100:101]
	;; [unrolled: 1-line block ×4, first 2 shown]
	v_add_f64_e32 v[44:45], v[44:45], v[76:77]
	v_fma_f64 v[66:67], v[150:151], s[14:15], v[142:143]
	v_add_f64_e64 v[100:101], v[12:13], -v[114:115]
	v_add_f64_e64 v[158:159], v[124:125], -v[82:83]
	v_fma_f64 v[142:143], v[150:151], s[12:13], v[142:143]
	v_fma_f64 v[154:155], v[112:113], s[12:13], v[54:55]
	v_add_f64_e64 v[76:77], v[76:77], -v[84:85]
	v_add_f64_e64 v[84:85], v[114:115], -v[12:13]
	v_fma_f64 v[54:55], v[112:113], s[14:15], v[54:55]
	v_add_f64_e32 v[134:135], v[134:135], v[160:161]
	v_add_f64_e64 v[160:161], v[128:129], -v[16:17]
	v_add_f64_e32 v[172:173], v[52:53], v[56:57]
	v_add_f64_e64 v[52:53], v[128:129], -v[124:125]
	v_fma_f64 v[168:169], v[120:121], s[2:3], v[38:39]
	v_add_f64_e32 v[38:39], v[164:165], v[128:129]
	v_add_f64_e32 v[2:3], v[2:3], v[132:133]
	v_fma_f64 v[120:121], v[120:121], s[10:11], v[40:41]
	v_fma_f64 v[170:171], v[102:103], s[2:3], v[48:49]
	;; [unrolled: 1-line block ×3, first 2 shown]
	v_add_f64_e32 v[114:115], v[44:45], v[114:115]
	v_fma_f64 v[174:175], v[112:113], s[10:11], v[66:67]
	v_add_f64_e32 v[100:101], v[74:75], v[100:101]
	v_fma_f64 v[40:41], v[166:167], s[12:13], v[152:153]
	v_add_f64_e64 v[42:43], v[124:125], -v[128:129]
	v_add_f64_e64 v[44:45], v[82:83], -v[16:17]
	v_fma_f64 v[56:57], v[158:159], s[14:15], v[46:47]
	v_add_f64_e64 v[66:67], v[126:127], -v[132:133]
	v_add_f64_e64 v[74:75], v[86:87], -v[80:81]
	v_fma_f64 v[112:113], v[112:113], s[2:3], v[142:143]
	v_fma_f64 v[142:143], v[150:151], s[10:11], v[154:155]
	v_add_f64_e32 v[84:85], v[76:77], v[84:85]
	v_fma_f64 v[150:151], v[150:151], s[2:3], v[54:55]
	v_fma_f64 v[48:49], v[92:93], s[14:15], v[0:1]
	v_add_f64_e64 v[54:55], v[16:17], -v[82:83]
	v_fma_f64 v[76:77], v[160:161], s[12:13], v[50:51]
	v_add_f64_e64 v[124:125], v[132:133], -v[126:127]
	v_add_f64_e64 v[126:127], v[80:81], -v[86:87]
	v_fma_f64 v[128:129], v[92:93], s[12:13], v[0:1]
	v_fma_f64 v[50:51], v[160:161], s[14:15], v[50:51]
	;; [unrolled: 1-line block ×4, first 2 shown]
	v_add_f64_e32 v[0:1], v[108:109], v[6:7]
	v_add_f64_e32 v[108:109], v[38:39], v[16:17]
	v_fma_f64 v[38:39], v[140:141], s[0:1], v[148:149]
	v_add_f64_e32 v[6:7], v[144:145], v[8:9]
	v_add_f64_e32 v[8:9], v[78:79], v[14:15]
	v_fma_f64 v[14:15], v[134:135], s[0:1], v[168:169]
	v_add_f64_e32 v[177:178], v[2:3], v[80:81]
	v_add_f64_e32 v[2:3], v[96:97], v[4:5]
	;; [unrolled: 1-line block ×3, first 2 shown]
	v_fma_f64 v[78:79], v[172:173], s[0:1], v[102:103]
	v_add_f64_e32 v[10:11], v[114:115], v[12:13]
	v_fma_f64 v[16:17], v[100:101], s[0:1], v[174:175]
	v_fma_f64 v[148:149], v[92:93], s[2:3], v[40:41]
	;; [unrolled: 1-line block ×3, first 2 shown]
	v_add_f64_e32 v[152:153], v[42:43], v[44:45]
	v_fma_f64 v[179:180], v[160:161], s[10:11], v[56:57]
	v_fma_f64 v[42:43], v[140:141], s[0:1], v[138:139]
	v_add_f64_e32 v[181:182], v[66:67], v[74:75]
	v_fma_f64 v[44:45], v[58:59], s[0:1], v[60:61]
	v_fma_f64 v[56:57], v[162:163], s[0:1], v[106:107]
	;; [unrolled: 1-line block ×5, first 2 shown]
	v_add_f64_e32 v[164:165], v[52:53], v[54:55]
	v_fma_f64 v[183:184], v[158:159], s[10:11], v[76:77]
	v_fma_f64 v[48:49], v[94:95], s[0:1], v[62:63]
	v_add_f64_e32 v[124:125], v[124:125], v[126:127]
	v_fma_f64 v[126:127], v[166:167], s[10:11], v[128:129]
	v_fma_f64 v[128:129], v[158:159], s[2:3], v[50:51]
	;; [unrolled: 1-line block ×15, first 2 shown]
	v_add_f64_e32 v[82:83], v[108:109], v[82:83]
	v_add_f64_e32 v[84:85], v[177:178], v[86:87]
	v_fma_f64 v[70:71], v[134:135], s[0:1], v[120:121]
	v_fma_f64 v[72:73], v[100:101], s[0:1], v[112:113]
	s_mov_b32 s2, 0x5a912e32
	s_mov_b32 s3, 0x3f3d208a
	v_fma_f64 v[86:87], v[152:153], s[0:1], v[148:149]
	v_fma_f64 v[88:89], v[181:182], s[0:1], v[179:180]
	;; [unrolled: 1-line block ×8, first 2 shown]
	ds_store_b128 v176, v[18:21]
	ds_store_b128 v176, v[0:3] offset:1440
	ds_store_b128 v176, v[30:33] offset:14400
	;; [unrolled: 1-line block ×24, first 2 shown]
	global_wb scope:SCOPE_SE
	s_wait_dscnt 0x0
	s_barrier_signal -1
	s_barrier_wait -1
	global_inv scope:SCOPE_SE
	ds_load_b128 v[0:3], v176
	ds_load_b128 v[4:7], v176 offset:3600
	ds_load_b128 v[8:11], v176 offset:7200
	;; [unrolled: 1-line block ×4, first 2 shown]
	s_clause 0x4
	scratch_load_b128 v[60:63], off, off offset:132 th:TH_LOAD_LU
	scratch_load_b64 v[32:33], off, off offset:12 th:TH_LOAD_LU
	scratch_load_b128 v[74:77], off, off offset:228 th:TH_LOAD_LU
	scratch_load_b128 v[66:69], off, off offset:148 th:TH_LOAD_LU
	;; [unrolled: 1-line block ×3, first 2 shown]
	ds_load_b128 v[20:23], v176 offset:1440
	ds_load_b128 v[24:27], v176 offset:5040
	;; [unrolled: 1-line block ×3, first 2 shown]
	s_wait_loadcnt_dscnt 0x407
	v_mul_f64_e32 v[40:41], v[62:63], v[2:3]
	s_wait_loadcnt 0x3
	v_mov_b32_e32 v58, v32
	ds_load_b128 v[32:35], v176 offset:14400
	ds_load_b128 v[36:39], v176 offset:18000
	scratch_load_b32 v90, off, off th:TH_LOAD_LU ; 4-byte Folded Reload
	s_wait_loadcnt_dscnt 0x306
	v_mul_f64_e32 v[52:53], v[76:77], v[14:15]
	v_mul_f64_e32 v[42:43], v[62:63], v[0:1]
	s_wait_loadcnt 0x2
	v_mul_f64_e32 v[44:45], v[68:69], v[6:7]
	v_mul_f64_e32 v[46:47], v[68:69], v[4:5]
	s_wait_loadcnt 0x1
	v_mul_f64_e32 v[48:49], v[72:73], v[10:11]
	v_mul_f64_e32 v[50:51], v[72:73], v[8:9]
	;; [unrolled: 1-line block ×3, first 2 shown]
	v_fma_f64 v[72:73], v[74:75], v[12:13], v[52:53]
	v_fma_f64 v[64:65], v[66:67], v[4:5], v[44:45]
	v_fma_f64 v[66:67], v[66:67], v[6:7], -v[46:47]
	v_fma_f64 v[68:69], v[70:71], v[8:9], v[48:49]
	v_fma_f64 v[70:71], v[70:71], v[10:11], -v[50:51]
	v_fma_f64 v[74:75], v[74:75], v[14:15], -v[54:55]
	ds_load_b128 v[4:7], v176 offset:25200
	s_wait_loadcnt 0x0
	v_mad_co_u64_u32 v[62:63], null, s4, v90, 0
	s_delay_alu instid0(VALU_DEP_1) | instskip(NEXT) | instid1(VALU_DEP_1)
	v_mov_b32_e32 v52, v63
	v_mad_co_u64_u32 v[90:91], null, s5, v90, v[52:53]
	s_delay_alu instid0(VALU_DEP_1) | instskip(SKIP_1) | instid1(VALU_DEP_1)
	v_mov_b32_e32 v63, v90
	v_mad_co_u64_u32 v[56:57], null, s6, v58, 0
	v_mad_co_u64_u32 v[57:58], null, s7, v58, v[57:58]
	v_fma_f64 v[58:59], v[60:61], v[0:1], v[40:41]
	v_fma_f64 v[60:61], v[60:61], v[2:3], -v[42:43]
	ds_load_b128 v[0:3], v176 offset:21600
	ds_load_b128 v[8:11], v176 offset:28800
	;; [unrolled: 1-line block ×3, first 2 shown]
	s_clause 0x1
	scratch_load_b128 v[104:107], off, off offset:212 th:TH_LOAD_LU
	scratch_load_b128 v[100:103], off, off offset:84 th:TH_LOAD_LU
	v_lshlrev_b64_e32 v[97:98], 4, v[56:57]
	s_mul_u64 s[6:7], s[4:5], 0xe1
	ds_load_b128 v[40:43], v176 offset:15840
	ds_load_b128 v[44:47], v176 offset:19440
	s_wait_alu 0xfffe
	s_lshl_b64 s[6:7], s[6:7], 4
	ds_load_b128 v[48:51], v176 offset:23040
	ds_load_b128 v[52:55], v176 offset:26640
	v_add_co_u32 v90, s0, s8, v97
	s_wait_alu 0xf1ff
	v_add_co_ci_u32_e64 v99, s0, s9, v98, s0
	v_lshlrev_b64_e32 v[97:98], 4, v[62:63]
	v_mul_f64_e32 v[62:63], s[2:3], v[66:67]
	v_mul_f64_e32 v[66:67], s[2:3], v[70:71]
	;; [unrolled: 1-line block ×8, first 2 shown]
	s_wait_loadcnt_dscnt 0x109
	v_mul_f64_e32 v[76:77], v[106:107], v[34:35]
	v_mul_f64_e32 v[78:79], v[106:107], v[32:33]
	scratch_load_b128 v[106:109], off, off offset:260 th:TH_LOAD_LU ; 16-byte Folded Reload
	s_wait_loadcnt_dscnt 0x105
	v_mul_f64_e32 v[93:94], v[102:103], v[10:11]
	v_mul_f64_e32 v[95:96], v[102:103], v[8:9]
	v_fma_f64 v[72:73], v[104:105], v[32:33], v[76:77]
	v_add_co_u32 v76, s0, v90, v97
	s_wait_alu 0xf1ff
	v_add_co_ci_u32_e64 v77, s0, v99, v98, s0
	v_fma_f64 v[74:75], v[104:105], v[34:35], -v[78:79]
	ds_load_b128 v[32:35], v176 offset:32400
	s_wait_loadcnt 0x0
	v_mul_f64_e32 v[80:81], v[108:109], v[38:39]
	v_mul_f64_e32 v[82:83], v[108:109], v[36:37]
	scratch_load_b128 v[108:111], off, off offset:276 th:TH_LOAD_LU ; 16-byte Folded Reload
	v_fma_f64 v[36:37], v[106:107], v[36:37], v[80:81]
	v_fma_f64 v[38:39], v[106:107], v[38:39], -v[82:83]
	s_wait_loadcnt 0x0
	v_mul_f64_e32 v[84:85], v[110:111], v[2:3]
	v_mul_f64_e32 v[86:87], v[110:111], v[0:1]
	scratch_load_b128 v[110:113], off, off offset:292 th:TH_LOAD_LU ; 16-byte Folded Reload
	v_fma_f64 v[78:79], v[108:109], v[0:1], v[84:85]
	v_fma_f64 v[80:81], v[108:109], v[2:3], -v[86:87]
	ds_load_b128 v[0:3], v176 offset:30240
	v_fma_f64 v[86:87], v[100:101], v[8:9], v[93:94]
	s_wait_loadcnt 0x0
	v_mul_f64_e32 v[88:89], v[112:113], v[6:7]
	v_mul_f64_e32 v[91:92], v[112:113], v[4:5]
	s_delay_alu instid0(VALU_DEP_2) | instskip(SKIP_4) | instid1(VALU_DEP_4)
	v_fma_f64 v[82:83], v[110:111], v[4:5], v[88:89]
	s_wait_alu 0xfffe
	v_add_co_u32 v4, s0, v76, s6
	s_wait_alu 0xf1ff
	v_add_co_ci_u32_e64 v5, s0, s7, v77, s0
	v_fma_f64 v[84:85], v[110:111], v[6:7], -v[91:92]
	s_delay_alu instid0(VALU_DEP_3) | instskip(SKIP_1) | instid1(VALU_DEP_3)
	v_add_co_u32 v6, s0, v4, s6
	s_wait_alu 0xf1ff
	v_add_co_ci_u32_e64 v7, s0, s7, v5, s0
	v_fma_f64 v[88:89], v[100:101], v[10:11], -v[95:96]
	s_delay_alu instid0(VALU_DEP_3) | instskip(SKIP_1) | instid1(VALU_DEP_3)
	v_add_co_u32 v8, s0, v6, s6
	s_wait_alu 0xf1ff
	v_add_co_ci_u32_e64 v9, s0, s7, v7, s0
	scratch_load_b128 v[94:97], off, off offset:36 th:TH_LOAD_LU ; 16-byte Folded Reload
	s_clause 0x3
	global_store_b128 v[76:77], v[56:59], off
	global_store_b128 v[4:5], v[60:63], off
	;; [unrolled: 1-line block ×4, first 2 shown]
	scratch_load_b128 v[110:113], off, off offset:20 th:TH_LOAD_LU ; 16-byte Folded Reload
	v_mul_f64_e32 v[4:5], s[2:3], v[72:73]
	v_mul_f64_e32 v[6:7], s[2:3], v[74:75]
	v_add_co_u32 v64, s0, v8, s6
	s_wait_alu 0xf1ff
	v_add_co_ci_u32_e64 v65, s0, s7, v9, s0
	v_mul_f64_e32 v[8:9], s[2:3], v[36:37]
	v_mul_f64_e32 v[36:37], s[2:3], v[78:79]
	;; [unrolled: 1-line block ×5, first 2 shown]
	v_add_co_u32 v70, s0, v64, s6
	s_wait_alu 0xf1ff
	v_add_co_ci_u32_e64 v71, s0, s7, v65, s0
	s_delay_alu instid0(VALU_DEP_2) | instskip(SKIP_1) | instid1(VALU_DEP_2)
	v_add_co_u32 v108, s0, v70, s6
	s_wait_alu 0xf1ff
	v_add_co_ci_u32_e64 v109, s0, s7, v71, s0
	v_mul_f64_e32 v[56:57], s[2:3], v[82:83]
	v_mul_f64_e32 v[58:59], s[2:3], v[84:85]
	;; [unrolled: 1-line block ×3, first 2 shown]
	global_store_b128 v[64:65], v[4:7], off
	s_wait_loadcnt_dscnt 0x101
	v_mul_f64_e32 v[90:91], v[96:97], v[34:35]
	v_mul_f64_e32 v[92:93], v[96:97], v[32:33]
	s_wait_loadcnt 0x0
	v_mul_f64_e32 v[66:67], v[112:113], v[22:23]
	v_mul_f64_e32 v[68:69], v[112:113], v[20:21]
	scratch_load_b128 v[112:115], off, off offset:52 th:TH_LOAD_LU ; 16-byte Folded Reload
	v_fma_f64 v[32:33], v[94:95], v[32:33], v[90:91]
	v_fma_f64 v[34:35], v[94:95], v[34:35], -v[92:93]
	v_fma_f64 v[20:21], v[110:111], v[20:21], v[66:67]
	v_fma_f64 v[22:23], v[110:111], v[22:23], -v[68:69]
	v_add_co_u32 v66, s0, v108, s6
	s_wait_alu 0xf1ff
	v_add_co_ci_u32_e64 v67, s0, s7, v109, s0
	s_delay_alu instid0(VALU_DEP_2) | instskip(SKIP_1) | instid1(VALU_DEP_2)
	v_add_co_u32 v64, s0, v66, s6
	s_wait_alu 0xf1ff
	v_add_co_ci_u32_e64 v65, s0, s7, v67, s0
	v_mul_f64_e32 v[4:5], s[2:3], v[32:33]
	v_mul_f64_e32 v[6:7], s[2:3], v[34:35]
	s_wait_loadcnt 0x0
	v_mul_f64_e32 v[72:73], v[114:115], v[26:27]
	v_mul_f64_e32 v[74:75], v[114:115], v[24:25]
	scratch_load_b128 v[114:117], off, off offset:68 th:TH_LOAD_LU ; 16-byte Folded Reload
	v_fma_f64 v[24:25], v[112:113], v[24:25], v[72:73]
	v_fma_f64 v[26:27], v[112:113], v[26:27], -v[74:75]
	s_wait_loadcnt 0x0
	v_mul_f64_e32 v[76:77], v[116:117], v[30:31]
	v_mul_f64_e32 v[78:79], v[116:117], v[28:29]
	scratch_load_b128 v[116:119], off, off offset:100 th:TH_LOAD_LU ; 16-byte Folded Reload
	v_fma_f64 v[28:29], v[114:115], v[28:29], v[76:77]
	v_fma_f64 v[30:31], v[114:115], v[30:31], -v[78:79]
	s_wait_loadcnt 0x0
	v_mul_f64_e32 v[80:81], v[118:119], v[14:15]
	v_mul_f64_e32 v[82:83], v[118:119], v[12:13]
	scratch_load_b128 v[118:121], off, off offset:116 th:TH_LOAD_LU ; 16-byte Folded Reload
	s_wait_loadcnt 0x0
	v_mul_f64_e32 v[84:85], v[120:121], v[42:43]
	v_mul_f64_e32 v[86:87], v[120:121], v[40:41]
	scratch_load_b128 v[120:123], off, off offset:164 th:TH_LOAD_LU ; 16-byte Folded Reload
	v_fma_f64 v[32:33], v[118:119], v[40:41], v[84:85]
	v_fma_f64 v[34:35], v[118:119], v[42:43], -v[86:87]
	s_wait_loadcnt 0x0
	v_mul_f64_e32 v[88:89], v[122:123], v[46:47]
	v_mul_f64_e32 v[90:91], v[122:123], v[44:45]
	scratch_load_b128 v[122:125], off, off offset:196 th:TH_LOAD_LU ; 16-byte Folded Reload
	v_fma_f64 v[40:41], v[120:121], v[44:45], v[88:89]
	v_fma_f64 v[42:43], v[120:121], v[46:47], -v[90:91]
	s_wait_loadcnt 0x0
	v_mul_f64_e32 v[92:93], v[124:125], v[50:51]
	v_mul_f64_e32 v[94:95], v[124:125], v[48:49]
	scratch_load_b128 v[124:127], off, off offset:244 th:TH_LOAD_LU ; 16-byte Folded Reload
	v_fma_f64 v[44:45], v[122:123], v[48:49], v[92:93]
	v_fma_f64 v[46:47], v[122:123], v[50:51], -v[94:95]
	s_wait_loadcnt 0x0
	v_mul_f64_e32 v[96:97], v[126:127], v[54:55]
	v_mul_f64_e32 v[98:99], v[126:127], v[52:53]
	scratch_load_b128 v[126:129], off, off offset:308 th:TH_LOAD_LU ; 16-byte Folded Reload
	v_fma_f64 v[48:49], v[124:125], v[52:53], v[96:97]
	v_fma_f64 v[50:51], v[124:125], v[54:55], -v[98:99]
	s_wait_loadcnt_dscnt 0x0
	v_mul_f64_e32 v[100:101], v[128:129], v[2:3]
	v_mul_f64_e32 v[102:103], v[128:129], v[0:1]
	scratch_load_b128 v[128:131], off, off offset:324 th:TH_LOAD_LU ; 16-byte Folded Reload
	global_store_b128 v[70:71], v[8:11], off
	global_store_b128 v[108:109], v[36:39], off
	;; [unrolled: 1-line block ×4, first 2 shown]
	v_fma_f64 v[36:37], v[116:117], v[12:13], v[80:81]
	v_fma_f64 v[38:39], v[116:117], v[14:15], -v[82:83]
	v_add_co_u32 v60, s0, v64, s6
	s_wait_alu 0xf1ff
	v_add_co_ci_u32_e64 v61, s0, s7, v65, s0
	s_movk_i32 s0, 0xf871
	s_mov_b32 s1, -1
	v_mul_f64_e32 v[8:9], s[2:3], v[24:25]
	s_wait_alu 0xfffe
	s_mul_u64 s[0:1], s[4:5], s[0:1]
	v_mul_f64_e32 v[10:11], s[2:3], v[26:27]
	s_wait_alu 0xfffe
	s_lshl_b64 s[4:5], s[0:1], 4
	v_mul_f64_e32 v[12:13], s[2:3], v[28:29]
	s_wait_alu 0xfffe
	v_add_co_u32 v62, s0, v60, s4
	s_wait_alu 0xf1ff
	v_add_co_ci_u32_e64 v63, s0, s5, v61, s0
	v_mul_f64_e32 v[14:15], s[2:3], v[30:31]
	s_delay_alu instid0(VALU_DEP_3) | instskip(SKIP_1) | instid1(VALU_DEP_3)
	v_add_co_u32 v64, s0, v62, s6
	s_wait_alu 0xf1ff
	v_add_co_ci_u32_e64 v65, s0, s7, v63, s0
	v_mul_f64_e32 v[24:25], s[2:3], v[40:41]
	s_delay_alu instid0(VALU_DEP_3) | instskip(SKIP_1) | instid1(VALU_DEP_3)
	v_add_co_u32 v66, s0, v64, s6
	s_wait_alu 0xf1ff
	v_add_co_ci_u32_e64 v67, s0, s7, v65, s0
	v_mul_f64_e32 v[26:27], s[2:3], v[42:43]
	v_mul_f64_e32 v[28:29], s[2:3], v[44:45]
	;; [unrolled: 1-line block ×3, first 2 shown]
	v_add_co_u32 v44, s0, v66, s6
	s_wait_alu 0xf1ff
	v_add_co_ci_u32_e64 v45, s0, s7, v67, s0
	v_fma_f64 v[52:53], v[126:127], v[0:1], v[100:101]
	v_fma_f64 v[54:55], v[126:127], v[2:3], -v[102:103]
	v_mul_f64_e32 v[0:1], s[2:3], v[20:21]
	v_mul_f64_e32 v[2:3], s[2:3], v[22:23]
	;; [unrolled: 1-line block ×6, first 2 shown]
	global_store_b128 v[60:61], v[4:7], off
	v_add_co_u32 v4, s0, v44, s6
	s_wait_alu 0xf1ff
	v_add_co_ci_u32_e64 v5, s0, s7, v45, s0
	global_store_b128 v[62:63], v[0:3], off
	v_add_co_u32 v2, s0, v4, s6
	s_wait_alu 0xf1ff
	v_add_co_ci_u32_e64 v3, s0, s7, v5, s0
	;; [unrolled: 4-line block ×4, first 2 shown]
	s_delay_alu instid0(VALU_DEP_2) | instskip(SKIP_1) | instid1(VALU_DEP_2)
	v_add_co_u32 v10, s0, v8, s6
	s_wait_alu 0xf1ff
	v_add_co_ci_u32_e64 v11, s0, s7, v9, s0
	s_delay_alu instid0(VALU_DEP_2) | instskip(SKIP_1) | instid1(VALU_DEP_2)
	v_add_co_u32 v0, s0, v10, s6
	s_wait_alu 0xf1ff
	v_add_co_ci_u32_e64 v1, s0, s7, v11, s0
	s_wait_loadcnt 0x0
	v_mul_f64_e32 v[104:105], v[130:131], v[18:19]
	v_mul_f64_e32 v[106:107], v[130:131], v[16:17]
	s_delay_alu instid0(VALU_DEP_2) | instskip(NEXT) | instid1(VALU_DEP_2)
	v_fma_f64 v[56:57], v[128:129], v[16:17], v[104:105]
	v_fma_f64 v[58:59], v[128:129], v[18:19], -v[106:107]
	v_mul_f64_e32 v[16:17], s[2:3], v[36:37]
	v_mul_f64_e32 v[18:19], s[2:3], v[38:39]
	;; [unrolled: 1-line block ×6, first 2 shown]
	global_store_b128 v[44:45], v[16:19], off
	global_store_b128 v[4:5], v[20:23], off
	;; [unrolled: 1-line block ×7, first 2 shown]
	s_and_b32 exec_lo, exec_lo, vcc_lo
	s_cbranch_execz .LBB0_31
; %bb.30:
	scratch_load_b64 v[20:21], off, off offset:4 th:TH_LOAD_LU ; 8-byte Folded Reload
	s_wait_loadcnt 0x0
	global_load_b128 v[2:5], v[20:21], off offset:2880
	ds_load_b128 v[6:9], v176 offset:2880
	ds_load_b128 v[10:13], v176 offset:35280
	s_wait_loadcnt_dscnt 0x1
	v_mul_f64_e32 v[14:15], v[8:9], v[4:5]
	v_mul_f64_e32 v[4:5], v[6:7], v[4:5]
	s_delay_alu instid0(VALU_DEP_2) | instskip(NEXT) | instid1(VALU_DEP_2)
	v_fma_f64 v[6:7], v[6:7], v[2:3], v[14:15]
	v_fma_f64 v[4:5], v[2:3], v[8:9], -v[4:5]
	v_add_co_u32 v8, vcc_lo, v0, s4
	s_wait_alu 0xfffd
	v_add_co_ci_u32_e32 v9, vcc_lo, s5, v1, vcc_lo
	s_delay_alu instid0(VALU_DEP_4) | instskip(NEXT) | instid1(VALU_DEP_4)
	v_mul_f64_e32 v[2:3], s[2:3], v[6:7]
	v_mul_f64_e32 v[4:5], s[2:3], v[4:5]
	global_store_b128 v[8:9], v[2:5], off
	global_load_b128 v[0:3], v[20:21], off offset:6480
	ds_load_b128 v[4:7], v176 offset:6480
	ds_load_b128 v[14:17], v176 offset:10080
	s_wait_loadcnt_dscnt 0x1
	v_mul_f64_e32 v[18:19], v[6:7], v[2:3]
	v_mul_f64_e32 v[2:3], v[4:5], v[2:3]
	s_delay_alu instid0(VALU_DEP_2) | instskip(NEXT) | instid1(VALU_DEP_2)
	v_fma_f64 v[4:5], v[4:5], v[0:1], v[18:19]
	v_fma_f64 v[2:3], v[0:1], v[6:7], -v[2:3]
	s_delay_alu instid0(VALU_DEP_2) | instskip(NEXT) | instid1(VALU_DEP_2)
	v_mul_f64_e32 v[0:1], s[2:3], v[4:5]
	v_mul_f64_e32 v[2:3], s[2:3], v[2:3]
	v_add_co_u32 v4, vcc_lo, v8, s6
	s_wait_alu 0xfffd
	v_add_co_ci_u32_e32 v5, vcc_lo, s7, v9, vcc_lo
	s_delay_alu instid0(VALU_DEP_2) | instskip(SKIP_1) | instid1(VALU_DEP_2)
	v_add_co_u32 v8, vcc_lo, v4, s6
	s_wait_alu 0xfffd
	v_add_co_ci_u32_e32 v9, vcc_lo, s7, v5, vcc_lo
	global_store_b128 v[4:5], v[0:3], off
	global_load_b128 v[0:3], v[20:21], off offset:10080
	s_wait_loadcnt_dscnt 0x0
	v_mul_f64_e32 v[6:7], v[16:17], v[2:3]
	v_mul_f64_e32 v[2:3], v[14:15], v[2:3]
	s_delay_alu instid0(VALU_DEP_2) | instskip(NEXT) | instid1(VALU_DEP_2)
	v_fma_f64 v[6:7], v[14:15], v[0:1], v[6:7]
	v_fma_f64 v[2:3], v[0:1], v[16:17], -v[2:3]
	s_delay_alu instid0(VALU_DEP_2) | instskip(NEXT) | instid1(VALU_DEP_2)
	v_mul_f64_e32 v[0:1], s[2:3], v[6:7]
	v_mul_f64_e32 v[2:3], s[2:3], v[2:3]
	global_store_b128 v[8:9], v[0:3], off
	global_load_b128 v[0:3], v[20:21], off offset:13680
	ds_load_b128 v[4:7], v176 offset:13680
	ds_load_b128 v[14:17], v176 offset:17280
	s_wait_loadcnt_dscnt 0x1
	v_mul_f64_e32 v[18:19], v[6:7], v[2:3]
	v_mul_f64_e32 v[2:3], v[4:5], v[2:3]
	s_delay_alu instid0(VALU_DEP_2) | instskip(NEXT) | instid1(VALU_DEP_2)
	v_fma_f64 v[4:5], v[4:5], v[0:1], v[18:19]
	v_fma_f64 v[2:3], v[0:1], v[6:7], -v[2:3]
	s_delay_alu instid0(VALU_DEP_2) | instskip(NEXT) | instid1(VALU_DEP_2)
	v_mul_f64_e32 v[0:1], s[2:3], v[4:5]
	v_mul_f64_e32 v[2:3], s[2:3], v[2:3]
	v_add_co_u32 v4, vcc_lo, v8, s6
	s_wait_alu 0xfffd
	v_add_co_ci_u32_e32 v5, vcc_lo, s7, v9, vcc_lo
	s_delay_alu instid0(VALU_DEP_2) | instskip(SKIP_1) | instid1(VALU_DEP_2)
	v_add_co_u32 v8, vcc_lo, v4, s6
	s_wait_alu 0xfffd
	v_add_co_ci_u32_e32 v9, vcc_lo, s7, v5, vcc_lo
	global_store_b128 v[4:5], v[0:3], off
	global_load_b128 v[0:3], v[20:21], off offset:17280
	s_wait_loadcnt_dscnt 0x0
	v_mul_f64_e32 v[6:7], v[16:17], v[2:3]
	v_mul_f64_e32 v[2:3], v[14:15], v[2:3]
	s_delay_alu instid0(VALU_DEP_2) | instskip(NEXT) | instid1(VALU_DEP_2)
	v_fma_f64 v[6:7], v[14:15], v[0:1], v[6:7]
	v_fma_f64 v[2:3], v[0:1], v[16:17], -v[2:3]
	s_delay_alu instid0(VALU_DEP_2) | instskip(NEXT) | instid1(VALU_DEP_2)
	;; [unrolled: 31-line block ×3, first 2 shown]
	v_mul_f64_e32 v[0:1], s[2:3], v[6:7]
	v_mul_f64_e32 v[2:3], s[2:3], v[2:3]
	global_store_b128 v[8:9], v[0:3], off
	global_load_b128 v[0:3], v[20:21], off offset:28080
	ds_load_b128 v[4:7], v176 offset:28080
	ds_load_b128 v[14:17], v176 offset:31680
	s_wait_loadcnt_dscnt 0x1
	v_mul_f64_e32 v[18:19], v[6:7], v[2:3]
	v_mul_f64_e32 v[2:3], v[4:5], v[2:3]
	s_delay_alu instid0(VALU_DEP_2) | instskip(NEXT) | instid1(VALU_DEP_2)
	v_fma_f64 v[4:5], v[4:5], v[0:1], v[18:19]
	v_fma_f64 v[2:3], v[0:1], v[6:7], -v[2:3]
	s_delay_alu instid0(VALU_DEP_2) | instskip(NEXT) | instid1(VALU_DEP_2)
	v_mul_f64_e32 v[0:1], s[2:3], v[4:5]
	v_mul_f64_e32 v[2:3], s[2:3], v[2:3]
	v_add_co_u32 v4, vcc_lo, v8, s6
	s_wait_alu 0xfffd
	v_add_co_ci_u32_e32 v5, vcc_lo, s7, v9, vcc_lo
	global_store_b128 v[4:5], v[0:3], off
	global_load_b128 v[0:3], v[20:21], off offset:31680
	v_add_co_u32 v4, vcc_lo, v4, s6
	s_wait_alu 0xfffd
	v_add_co_ci_u32_e32 v5, vcc_lo, s7, v5, vcc_lo
	s_wait_loadcnt_dscnt 0x0
	v_mul_f64_e32 v[6:7], v[16:17], v[2:3]
	v_mul_f64_e32 v[2:3], v[14:15], v[2:3]
	s_delay_alu instid0(VALU_DEP_2) | instskip(NEXT) | instid1(VALU_DEP_2)
	v_fma_f64 v[6:7], v[14:15], v[0:1], v[6:7]
	v_fma_f64 v[2:3], v[0:1], v[16:17], -v[2:3]
	s_delay_alu instid0(VALU_DEP_2) | instskip(NEXT) | instid1(VALU_DEP_2)
	v_mul_f64_e32 v[0:1], s[2:3], v[6:7]
	v_mul_f64_e32 v[2:3], s[2:3], v[2:3]
	global_store_b128 v[4:5], v[0:3], off
	global_load_b128 v[0:3], v[20:21], off offset:35280
	v_add_co_u32 v4, vcc_lo, v4, s6
	s_wait_alu 0xfffd
	v_add_co_ci_u32_e32 v5, vcc_lo, s7, v5, vcc_lo
	s_wait_loadcnt 0x0
	v_mul_f64_e32 v[6:7], v[12:13], v[2:3]
	v_mul_f64_e32 v[2:3], v[10:11], v[2:3]
	s_delay_alu instid0(VALU_DEP_2) | instskip(NEXT) | instid1(VALU_DEP_2)
	v_fma_f64 v[6:7], v[10:11], v[0:1], v[6:7]
	v_fma_f64 v[2:3], v[0:1], v[12:13], -v[2:3]
	s_delay_alu instid0(VALU_DEP_2) | instskip(NEXT) | instid1(VALU_DEP_2)
	v_mul_f64_e32 v[0:1], s[2:3], v[6:7]
	v_mul_f64_e32 v[2:3], s[2:3], v[2:3]
	global_store_b128 v[4:5], v[0:3], off
.LBB0_31:
	s_nop 0
	s_sendmsg sendmsg(MSG_DEALLOC_VGPRS)
	s_endpgm
	.section	.rodata,"a",@progbits
	.p2align	6, 0x0
	.amdhsa_kernel bluestein_single_fwd_len2250_dim1_dp_op_CI_CI
		.amdhsa_group_segment_fixed_size 36000
		.amdhsa_private_segment_fixed_size 1396
		.amdhsa_kernarg_size 104
		.amdhsa_user_sgpr_count 2
		.amdhsa_user_sgpr_dispatch_ptr 0
		.amdhsa_user_sgpr_queue_ptr 0
		.amdhsa_user_sgpr_kernarg_segment_ptr 1
		.amdhsa_user_sgpr_dispatch_id 0
		.amdhsa_user_sgpr_private_segment_size 0
		.amdhsa_wavefront_size32 1
		.amdhsa_uses_dynamic_stack 0
		.amdhsa_enable_private_segment 1
		.amdhsa_system_sgpr_workgroup_id_x 1
		.amdhsa_system_sgpr_workgroup_id_y 0
		.amdhsa_system_sgpr_workgroup_id_z 0
		.amdhsa_system_sgpr_workgroup_info 0
		.amdhsa_system_vgpr_workitem_id 0
		.amdhsa_next_free_vgpr 256
		.amdhsa_next_free_sgpr 24
		.amdhsa_reserve_vcc 1
		.amdhsa_float_round_mode_32 0
		.amdhsa_float_round_mode_16_64 0
		.amdhsa_float_denorm_mode_32 3
		.amdhsa_float_denorm_mode_16_64 3
		.amdhsa_fp16_overflow 0
		.amdhsa_workgroup_processor_mode 1
		.amdhsa_memory_ordered 1
		.amdhsa_forward_progress 0
		.amdhsa_round_robin_scheduling 0
		.amdhsa_exception_fp_ieee_invalid_op 0
		.amdhsa_exception_fp_denorm_src 0
		.amdhsa_exception_fp_ieee_div_zero 0
		.amdhsa_exception_fp_ieee_overflow 0
		.amdhsa_exception_fp_ieee_underflow 0
		.amdhsa_exception_fp_ieee_inexact 0
		.amdhsa_exception_int_div_zero 0
	.end_amdhsa_kernel
	.text
.Lfunc_end0:
	.size	bluestein_single_fwd_len2250_dim1_dp_op_CI_CI, .Lfunc_end0-bluestein_single_fwd_len2250_dim1_dp_op_CI_CI
                                        ; -- End function
	.section	.AMDGPU.csdata,"",@progbits
; Kernel info:
; codeLenInByte = 41968
; NumSgprs: 26
; NumVgprs: 256
; ScratchSize: 1396
; MemoryBound: 0
; FloatMode: 240
; IeeeMode: 1
; LDSByteSize: 36000 bytes/workgroup (compile time only)
; SGPRBlocks: 3
; VGPRBlocks: 31
; NumSGPRsForWavesPerEU: 26
; NumVGPRsForWavesPerEU: 256
; Occupancy: 3
; WaveLimiterHint : 1
; COMPUTE_PGM_RSRC2:SCRATCH_EN: 1
; COMPUTE_PGM_RSRC2:USER_SGPR: 2
; COMPUTE_PGM_RSRC2:TRAP_HANDLER: 0
; COMPUTE_PGM_RSRC2:TGID_X_EN: 1
; COMPUTE_PGM_RSRC2:TGID_Y_EN: 0
; COMPUTE_PGM_RSRC2:TGID_Z_EN: 0
; COMPUTE_PGM_RSRC2:TIDIG_COMP_CNT: 0
	.text
	.p2alignl 7, 3214868480
	.fill 96, 4, 3214868480
	.type	__hip_cuid_91c788b688dd13fe,@object ; @__hip_cuid_91c788b688dd13fe
	.section	.bss,"aw",@nobits
	.globl	__hip_cuid_91c788b688dd13fe
__hip_cuid_91c788b688dd13fe:
	.byte	0                               ; 0x0
	.size	__hip_cuid_91c788b688dd13fe, 1

	.ident	"AMD clang version 19.0.0git (https://github.com/RadeonOpenCompute/llvm-project roc-6.4.0 25133 c7fe45cf4b819c5991fe208aaa96edf142730f1d)"
	.section	".note.GNU-stack","",@progbits
	.addrsig
	.addrsig_sym __hip_cuid_91c788b688dd13fe
	.amdgpu_metadata
---
amdhsa.kernels:
  - .args:
      - .actual_access:  read_only
        .address_space:  global
        .offset:         0
        .size:           8
        .value_kind:     global_buffer
      - .actual_access:  read_only
        .address_space:  global
        .offset:         8
        .size:           8
        .value_kind:     global_buffer
      - .actual_access:  read_only
        .address_space:  global
        .offset:         16
        .size:           8
        .value_kind:     global_buffer
      - .actual_access:  read_only
        .address_space:  global
        .offset:         24
        .size:           8
        .value_kind:     global_buffer
      - .actual_access:  read_only
        .address_space:  global
        .offset:         32
        .size:           8
        .value_kind:     global_buffer
      - .offset:         40
        .size:           8
        .value_kind:     by_value
      - .address_space:  global
        .offset:         48
        .size:           8
        .value_kind:     global_buffer
      - .address_space:  global
        .offset:         56
        .size:           8
        .value_kind:     global_buffer
      - .address_space:  global
        .offset:         64
        .size:           8
        .value_kind:     global_buffer
      - .address_space:  global
        .offset:         72
        .size:           8
        .value_kind:     global_buffer
      - .offset:         80
        .size:           4
        .value_kind:     by_value
      - .address_space:  global
        .offset:         88
        .size:           8
        .value_kind:     global_buffer
      - .address_space:  global
        .offset:         96
        .size:           8
        .value_kind:     global_buffer
    .group_segment_fixed_size: 36000
    .kernarg_segment_align: 8
    .kernarg_segment_size: 104
    .language:       OpenCL C
    .language_version:
      - 2
      - 0
    .max_flat_workgroup_size: 90
    .name:           bluestein_single_fwd_len2250_dim1_dp_op_CI_CI
    .private_segment_fixed_size: 1396
    .sgpr_count:     26
    .sgpr_spill_count: 0
    .symbol:         bluestein_single_fwd_len2250_dim1_dp_op_CI_CI.kd
    .uniform_work_group_size: 1
    .uses_dynamic_stack: false
    .vgpr_count:     256
    .vgpr_spill_count: 358
    .wavefront_size: 32
    .workgroup_processor_mode: 1
amdhsa.target:   amdgcn-amd-amdhsa--gfx1201
amdhsa.version:
  - 1
  - 2
...

	.end_amdgpu_metadata
